;; amdgpu-corpus repo=ROCm/rocFFT kind=compiled arch=gfx950 opt=O3
	.text
	.amdgcn_target "amdgcn-amd-amdhsa--gfx950"
	.amdhsa_code_object_version 6
	.protected	bluestein_single_fwd_len432_dim1_sp_op_CI_CI ; -- Begin function bluestein_single_fwd_len432_dim1_sp_op_CI_CI
	.globl	bluestein_single_fwd_len432_dim1_sp_op_CI_CI
	.p2align	8
	.type	bluestein_single_fwd_len432_dim1_sp_op_CI_CI,@function
bluestein_single_fwd_len432_dim1_sp_op_CI_CI: ; @bluestein_single_fwd_len432_dim1_sp_op_CI_CI
; %bb.0:
	s_load_dwordx4 s[12:15], s[0:1], 0x28
	v_mul_u32_u24_e32 v1, 0x97c, v0
	v_lshrrev_b32_e32 v2, 16, v1
	v_mov_b32_e32 v127, 0
	v_lshl_add_u32 v134, s2, 1, v2
	v_mov_b32_e32 v135, v127
	s_waitcnt lgkmcnt(0)
	v_cmp_gt_u64_e32 vcc, s[12:13], v[134:135]
	s_and_saveexec_b64 s[2:3], vcc
	s_cbranch_execz .LBB0_31
; %bb.1:
	s_load_dwordx4 s[8:11], s[0:1], 0x18
	s_load_dwordx2 s[12:13], s[0:1], 0x0
	v_mul_lo_u16_e32 v1, 27, v2
	v_sub_u16_e32 v126, v0, v1
	v_or_b32_e32 v135, 0x120, v126
	s_waitcnt lgkmcnt(0)
	s_load_dwordx4 s[4:7], s[8:9], 0x0
	v_mov_b32_e32 v4, s14
	v_mov_b32_e32 v5, s15
	v_lshlrev_b32_e32 v152, 3, v126
	global_load_dwordx2 v[142:143], v152, s[12:13]
	global_load_dwordx2 v[140:141], v152, s[12:13] offset:1152
	s_waitcnt lgkmcnt(0)
	v_mad_u64_u32 v[0:1], s[2:3], s6, v134, 0
	v_mov_b32_e32 v6, v1
	v_mad_u64_u32 v[6:7], s[2:3], s7, v134, v[6:7]
	v_mov_b32_e32 v1, v6
	;; [unrolled: 2-line block ×3, first 2 shown]
	v_mad_u64_u32 v[8:9], s[2:3], s5, v126, v[8:9]
	s_mul_i32 s2, s5, 0x90
	s_mul_hi_u32 s3, s4, 0x90
	s_add_i32 s3, s3, s2
	s_mul_i32 s2, s4, 0x90
	v_mov_b32_e32 v7, v8
	s_lshl_b64 s[14:15], s[2:3], 3
	v_mad_u64_u32 v[8:9], s[2:3], s4, v135, 0
	v_mov_b32_e32 v10, v9
	v_lshl_add_u64 v[0:1], v[0:1], 3, v[4:5]
	v_mad_u64_u32 v[10:11], s[2:3], s5, v135, v[10:11]
	v_lshl_add_u64 v[4:5], v[6:7], 3, v[0:1]
	v_mov_b32_e32 v9, v10
	v_lshl_add_u64 v[6:7], v[4:5], 0, s[14:15]
	v_lshl_add_u64 v[0:1], v[8:9], 3, v[0:1]
	global_load_dwordx2 v[4:5], v[4:5], off
	s_nop 0
	global_load_dwordx2 v[8:9], v[6:7], off
	global_load_dwordx2 v[10:11], v[0:1], off
	global_load_dwordx2 v[138:139], v152, s[12:13] offset:2304
	v_mov_b32_e32 v0, 0xfffffc58
	v_mad_u64_u32 v[0:1], s[2:3], s4, v0, v[6:7]
	s_mul_i32 s2, s5, 0xfffffc58
	s_sub_i32 s2, s2, s4
	s_mul_hi_u32 s3, s4, 0xfffffefb
	v_add_u32_e32 v1, s2, v1
	s_mul_i32 s2, s5, 0xfffffefb
	s_sub_i32 s3, s3, s4
	global_load_dwordx2 v[6:7], v[0:1], off
	global_load_dwordx2 v[136:137], v152, s[12:13] offset:216
	v_lshl_add_u64 v[0:1], v[0:1], 0, s[14:15]
	s_add_i32 s17, s3, s2
	s_mul_i32 s16, s4, 0xfffffefb
	global_load_dwordx2 v[12:13], v[0:1], off
	global_load_dwordx2 v[132:133], v152, s[12:13] offset:1368
	v_lshl_add_u64 v[0:1], v[0:1], 0, s[14:15]
	s_lshl_b64 s[2:3], s[16:17], 3
	global_load_dwordx2 v[14:15], v[0:1], off
	global_load_dwordx2 v[130:131], v152, s[12:13] offset:2520
	v_lshl_add_u64 v[0:1], v[0:1], 0, s[2:3]
	global_load_dwordx2 v[16:17], v[0:1], off
	global_load_dwordx2 v[128:129], v152, s[12:13] offset:432
	v_lshl_add_u64 v[0:1], v[0:1], 0, s[14:15]
	global_load_dwordx2 v[18:19], v[0:1], off
	global_load_dwordx2 v[124:125], v152, s[12:13] offset:1584
	v_lshl_add_u64 v[0:1], v[0:1], 0, s[14:15]
	global_load_dwordx2 v[20:21], v[0:1], off
	global_load_dwordx2 v[122:123], v152, s[12:13] offset:2736
	v_lshl_add_u64 v[0:1], v[0:1], 0, s[2:3]
	global_load_dwordx2 v[22:23], v[0:1], off
	global_load_dwordx2 v[120:121], v152, s[12:13] offset:648
	v_lshl_add_u64 v[0:1], v[0:1], 0, s[14:15]
	global_load_dwordx2 v[24:25], v[0:1], off
	global_load_dwordx2 v[118:119], v152, s[12:13] offset:1800
	v_lshl_add_u64 v[0:1], v[0:1], 0, s[14:15]
	global_load_dwordx2 v[26:27], v[0:1], off
	global_load_dwordx2 v[116:117], v152, s[12:13] offset:2952
	v_lshl_add_u64 v[0:1], v[0:1], 0, s[2:3]
	global_load_dwordx2 v[28:29], v[0:1], off
	global_load_dwordx2 v[114:115], v152, s[12:13] offset:864
	v_lshl_add_u64 v[0:1], v[0:1], 0, s[14:15]
	global_load_dwordx2 v[30:31], v[0:1], off
	global_load_dwordx2 v[112:113], v152, s[12:13] offset:2016
	v_lshl_add_u64 v[0:1], v[0:1], 0, s[14:15]
	global_load_dwordx2 v[32:33], v[0:1], off
	global_load_dwordx2 v[110:111], v152, s[12:13] offset:3168
	v_and_b32_e32 v2, 1, v2
	v_mov_b32_e32 v3, 0x1b0
	v_cmp_eq_u32_e32 vcc, 1, v2
	s_load_dwordx2 s[8:9], s[0:1], 0x38
	s_load_dwordx4 s[4:7], s[10:11], 0x0
	v_cndmask_b32_e32 v180, 0, v3, vcc
	v_lshlrev_b32_e32 v170, 3, v180
	v_add_u32_e32 v107, v170, v152
	v_mov_b32_e32 v153, v127
	v_lshl_add_u64 v[108:109], s[12:13], 0, v[152:153]
	v_cmp_lt_u16_e64 s[2:3], 8, v126
	v_cmp_gt_u16_e32 vcc, 9, v126
	s_waitcnt vmcnt(27)
	v_mul_f32_e32 v2, v5, v143
	v_fmac_f32_e32 v2, v4, v142
	v_mul_f32_e32 v3, v4, v143
	s_waitcnt vmcnt(26)
	v_mul_f32_e32 v4, v8, v141
	v_fma_f32 v3, v5, v142, -v3
	v_fma_f32 v5, v9, v140, -v4
	v_mul_f32_e32 v4, v9, v141
	v_fmac_f32_e32 v4, v8, v140
	ds_write_b64 v107, v[4:5] offset:1152
	s_waitcnt vmcnt(24)
	v_mul_f32_e32 v4, v11, v139
	v_mul_f32_e32 v5, v10, v139
	v_fmac_f32_e32 v4, v10, v138
	v_fma_f32 v5, v11, v138, -v5
	ds_write_b64 v107, v[4:5] offset:2304
	s_waitcnt vmcnt(22)
	v_mul_f32_e32 v4, v7, v137
	v_mul_f32_e32 v5, v6, v137
	v_fmac_f32_e32 v4, v6, v136
	v_fma_f32 v5, v7, v136, -v5
	ds_write2_b64 v107, v[2:3], v[4:5] offset1:27
	s_waitcnt vmcnt(20)
	v_mul_f32_e32 v2, v13, v133
	v_mul_f32_e32 v3, v12, v133
	v_fmac_f32_e32 v2, v12, v132
	s_waitcnt vmcnt(14)
	v_mul_f32_e32 v8, v19, v125
	v_mul_f32_e32 v9, v18, v125
	v_fma_f32 v3, v13, v132, -v3
	v_fmac_f32_e32 v8, v18, v124
	v_fma_f32 v9, v19, v124, -v9
	v_mul_f32_e32 v4, v15, v131
	v_mul_f32_e32 v5, v14, v131
	ds_write2_b64 v107, v[2:3], v[8:9] offset0:171 offset1:198
	s_waitcnt vmcnt(12)
	v_mul_f32_e32 v8, v21, v123
	v_mul_f32_e32 v2, v20, v123
	v_fmac_f32_e32 v4, v14, v130
	v_fma_f32 v5, v15, v130, -v5
	v_fmac_f32_e32 v8, v20, v122
	v_fma_f32 v9, v21, v122, -v2
	v_add_u32_e32 v2, 0x800, v107
	v_mul_f32_e32 v6, v17, v129
	v_mul_f32_e32 v7, v16, v129
	ds_write2_b64 v2, v[4:5], v[8:9] offset0:59 offset1:86
	s_waitcnt vmcnt(10)
	v_mul_f32_e32 v4, v23, v121
	v_mul_f32_e32 v3, v22, v121
	v_fmac_f32_e32 v6, v16, v128
	v_fma_f32 v7, v17, v128, -v7
	v_fmac_f32_e32 v4, v22, v120
	v_fma_f32 v5, v23, v120, -v3
	s_waitcnt vmcnt(8)
	v_mul_f32_e32 v3, v24, v119
	ds_write2_b64 v107, v[6:7], v[4:5] offset0:54 offset1:81
	v_fma_f32 v5, v25, v118, -v3
	s_waitcnt vmcnt(6)
	v_mul_f32_e32 v3, v26, v117
	v_fma_f32 v7, v27, v116, -v3
	s_waitcnt vmcnt(4)
	v_mul_f32_e32 v8, v29, v115
	v_mul_f32_e32 v3, v28, v115
	v_fmac_f32_e32 v8, v28, v114
	v_fma_f32 v9, v29, v114, -v3
	v_mul_f32_e32 v4, v25, v119
	ds_write_b64 v107, v[8:9] offset:864
	s_waitcnt vmcnt(2)
	v_mul_f32_e32 v8, v31, v113
	v_mul_f32_e32 v3, v30, v113
	v_fmac_f32_e32 v4, v24, v118
	v_fmac_f32_e32 v8, v30, v112
	v_fma_f32 v9, v31, v112, -v3
	v_mul_f32_e32 v6, v27, v117
	ds_write2_b64 v107, v[4:5], v[8:9] offset0:225 offset1:252
	s_waitcnt vmcnt(0)
	v_mul_f32_e32 v4, v33, v111
	v_mul_f32_e32 v3, v32, v111
	v_fmac_f32_e32 v6, v26, v116
	v_fmac_f32_e32 v4, v32, v110
	v_fma_f32 v5, v33, v110, -v3
	ds_write2_b64 v2, v[6:7], v[4:5] offset0:113 offset1:140
	s_and_saveexec_b64 s[10:11], vcc
	s_cbranch_execz .LBB0_3
; %bb.2:
	v_lshl_add_u64 v[0:1], s[16:17], 3, v[0:1]
	global_load_dwordx2 v[4:5], v[0:1], off
	global_load_dwordx2 v[6:7], v[108:109], off offset:1080
	v_lshl_add_u64 v[0:1], v[0:1], 0, s[14:15]
	global_load_dwordx2 v[8:9], v[0:1], off
	global_load_dwordx2 v[10:11], v[108:109], off offset:2232
	global_load_dwordx2 v[12:13], v[108:109], off offset:3384
	v_lshl_add_u64 v[0:1], v[0:1], 0, s[14:15]
	global_load_dwordx2 v[0:1], v[0:1], off
	v_add_u32_e32 v3, 0x400, v107
	s_waitcnt vmcnt(4)
	v_mul_f32_e32 v14, v5, v7
	v_mul_f32_e32 v7, v4, v7
	v_fmac_f32_e32 v14, v4, v6
	v_fma_f32 v15, v5, v6, -v7
	s_waitcnt vmcnt(2)
	v_mul_f32_e32 v4, v9, v11
	v_mul_f32_e32 v5, v8, v11
	s_waitcnt vmcnt(0)
	v_mul_f32_e32 v6, v1, v13
	v_mul_f32_e32 v7, v0, v13
	v_fmac_f32_e32 v4, v8, v10
	v_fma_f32 v5, v9, v10, -v5
	v_fmac_f32_e32 v6, v0, v12
	v_fma_f32 v7, v1, v12, -v7
	ds_write2_b64 v3, v[14:15], v[4:5] offset0:7 offset1:151
	ds_write_b64 v107, v[6:7] offset:3384
.LBB0_3:
	s_or_b64 exec, exec, s[10:11]
	s_waitcnt lgkmcnt(0)
	; wave barrier
	s_waitcnt lgkmcnt(0)
	ds_read2_b64 v[24:27], v107 offset1:27
	ds_read2_b64 v[4:7], v107 offset0:108 offset1:144
	ds_read2_b64 v[28:31], v2 offset0:32 offset1:59
	;; [unrolled: 1-line block ×6, first 2 shown]
	ds_read_b64 v[34:35], v107 offset:3168
	s_load_dwordx2 s[10:11], s[0:1], 0x8
                                        ; implicit-def: $vgpr0
                                        ; implicit-def: $vgpr32
	s_and_saveexec_b64 s[0:1], vcc
	s_cbranch_execz .LBB0_5
; %bb.4:
	v_add_u32_e32 v0, 0x400, v107
	ds_read2_b64 v[0:3], v0 offset0:7 offset1:151
	ds_read_b64 v[32:33], v107 offset:3384
.LBB0_5:
	s_or_b64 exec, exec, s[0:1]
	s_mov_b64 s[0:1], 0x51
	v_lshl_add_u64 v[154:155], v[126:127], 0, s[0:1]
	s_mov_b64 s[0:1], 0x6c
	v_lshl_add_u64 v[156:157], v[126:127], 0, s[0:1]
	;; [unrolled: 2-line block ×3, first 2 shown]
	s_waitcnt lgkmcnt(0)
	v_pk_add_f32 v[46:47], v[2:3], v[32:33]
	v_pk_add_f32 v[48:49], v[2:3], v[32:33] neg_lo:[0,1] neg_hi:[0,1]
	s_mov_b32 s0, 0x3f5db3d7
	v_pk_fma_f32 v[46:47], v[46:47], 0.5, v[0:1] op_sel_hi:[1,0,1] neg_lo:[1,0,0] neg_hi:[1,0,0]
	v_pk_mul_f32 v[48:49], v[48:49], s[0:1] op_sel_hi:[1,0]
	v_pk_add_f32 v[36:37], v[24:25], v[6:7]
	v_pk_add_f32 v[76:77], v[46:47], v[48:49] op_sel:[0,1] op_sel_hi:[1,0] neg_lo:[0,1] neg_hi:[0,1]
	v_pk_add_f32 v[78:79], v[46:47], v[48:49] op_sel:[0,1] op_sel_hi:[1,0]
	v_mul_lo_u16_e32 v46, 3, v126
	v_lshl_add_u32 v103, v46, 3, v170
	v_pk_add_f32 v[46:47], v[6:7], v[28:29]
	v_pk_add_f32 v[6:7], v[6:7], v[28:29] neg_lo:[0,1] neg_hi:[0,1]
	v_pk_fma_f32 v[24:25], v[46:47], 0.5, v[24:25] op_sel_hi:[1,0,1] neg_lo:[1,0,0] neg_hi:[1,0,0]
	v_pk_mul_f32 v[6:7], v[6:7], s[0:1] op_sel_hi:[1,0]
	v_pk_add_f32 v[36:37], v[36:37], v[28:29]
	v_pk_add_f32 v[28:29], v[24:25], v[6:7] op_sel:[0,1] op_sel_hi:[1,0]
	v_pk_add_f32 v[6:7], v[24:25], v[6:7] op_sel:[0,1] op_sel_hi:[1,0] neg_lo:[0,1] neg_hi:[0,1]
	v_mov_b32_e32 v24, v28
	v_mov_b32_e32 v25, v7
	v_pk_add_f32 v[38:39], v[26:27], v[20:21]
	s_waitcnt lgkmcnt(0)
	; wave barrier
	ds_write2_b64 v103, v[36:37], v[24:25] offset1:1
	v_pk_add_f32 v[24:25], v[20:21], v[30:31]
	v_pk_add_f32 v[20:21], v[20:21], v[30:31] neg_lo:[0,1] neg_hi:[0,1]
	v_lshl_add_u64 v[162:163], v[126:127], 0, 27
	v_mov_b32_e32 v7, v29
	v_pk_fma_f32 v[24:25], v[24:25], 0.5, v[26:27] op_sel_hi:[1,0,1] neg_lo:[1,0,0] neg_hi:[1,0,0]
	v_pk_mul_f32 v[20:21], v[20:21], s[0:1] op_sel_hi:[1,0]
	v_lshl_add_u64 v[160:161], v[126:127], 0, 54
	ds_write_b64 v103, v[6:7] offset:16
	v_mul_u32_u24_e32 v6, 3, v162
	v_pk_add_f32 v[26:27], v[24:25], v[20:21] op_sel:[0,1] op_sel_hi:[1,0]
	v_pk_add_f32 v[20:21], v[24:25], v[20:21] op_sel:[0,1] op_sel_hi:[1,0] neg_lo:[0,1] neg_hi:[0,1]
	v_lshl_add_u32 v161, v6, 3, v170
	v_pk_add_f32 v[6:7], v[38:39], v[30:31]
	v_mov_b32_e32 v24, v26
	v_mov_b32_e32 v25, v21
	v_pk_add_f32 v[40:41], v[12:13], v[22:23]
	ds_write2_b64 v161, v[6:7], v[24:25] offset1:1
	v_mov_b32_e32 v21, v27
	v_mul_u32_u24_e32 v6, 3, v160
	ds_write_b64 v161, v[20:21] offset:16
	v_lshl_add_u32 v171, v6, 3, v170
	v_pk_add_f32 v[6:7], v[40:41], v[16:17]
	v_pk_add_f32 v[20:21], v[22:23], v[16:17]
	v_pk_add_f32 v[16:17], v[22:23], v[16:17] neg_lo:[0,1] neg_hi:[0,1]
	v_pk_fma_f32 v[12:13], v[20:21], 0.5, v[12:13] op_sel_hi:[1,0,1] neg_lo:[1,0,0] neg_hi:[1,0,0]
	v_pk_mul_f32 v[16:17], v[16:17], s[0:1] op_sel_hi:[1,0]
	v_pk_add_f32 v[42:43], v[14:15], v[8:9]
	v_pk_add_f32 v[20:21], v[12:13], v[16:17] op_sel:[0,1] op_sel_hi:[1,0]
	v_pk_add_f32 v[12:13], v[12:13], v[16:17] op_sel:[0,1] op_sel_hi:[1,0] neg_lo:[0,1] neg_hi:[0,1]
	v_mov_b32_e32 v16, v20
	v_mov_b32_e32 v17, v13
	;; [unrolled: 1-line block ×3, first 2 shown]
	ds_write_b64 v171, v[12:13] offset:16
	v_pk_add_f32 v[12:13], v[8:9], v[18:19]
	v_pk_add_f32 v[8:9], v[8:9], v[18:19] neg_lo:[0,1] neg_hi:[0,1]
	v_pk_fma_f32 v[12:13], v[12:13], 0.5, v[14:15] op_sel_hi:[1,0,1] neg_lo:[1,0,0] neg_hi:[1,0,0]
	v_pk_mul_f32 v[8:9], v[8:9], s[0:1] op_sel_hi:[1,0]
	ds_write2_b64 v171, v[6:7], v[16:17] offset1:1
	v_mul_u32_u24_e32 v6, 3, v154
	v_pk_add_f32 v[14:15], v[12:13], v[8:9] op_sel:[0,1] op_sel_hi:[1,0]
	v_pk_add_f32 v[8:9], v[12:13], v[8:9] op_sel:[0,1] op_sel_hi:[1,0] neg_lo:[0,1] neg_hi:[0,1]
	v_lshl_add_u32 v172, v6, 3, v170
	v_mov_b32_e32 v13, v9
	v_mov_b32_e32 v9, v15
	ds_write_b64 v172, v[8:9] offset:16
	v_pk_add_f32 v[8:9], v[10:11], v[34:35]
	v_pk_add_f32 v[44:45], v[4:5], v[10:11]
	v_pk_fma_f32 v[4:5], v[8:9], 0.5, v[4:5] op_sel_hi:[1,0,1] neg_lo:[1,0,0] neg_hi:[1,0,0]
	v_pk_add_f32 v[8:9], v[10:11], v[34:35] neg_lo:[0,1] neg_hi:[0,1]
	v_pk_add_f32 v[6:7], v[42:43], v[18:19]
	v_mov_b32_e32 v12, v14
	v_pk_mul_f32 v[8:9], v[8:9], s[0:1] op_sel_hi:[1,0]
	ds_write2_b64 v172, v[6:7], v[12:13] offset1:1
	v_mul_u32_u24_e32 v6, 3, v156
	v_pk_add_f32 v[10:11], v[4:5], v[8:9] op_sel:[0,1] op_sel_hi:[1,0]
	v_pk_add_f32 v[4:5], v[4:5], v[8:9] op_sel:[0,1] op_sel_hi:[1,0] neg_lo:[0,1] neg_hi:[0,1]
	v_lshl_add_u32 v173, v6, 3, v170
	v_pk_add_f32 v[6:7], v[44:45], v[34:35]
	v_mov_b32_e32 v8, v10
	v_mov_b32_e32 v9, v5
	;; [unrolled: 1-line block ×3, first 2 shown]
	v_mul_u32_u24_e32 v174, 3, v158
	ds_write2_b64 v173, v[6:7], v[8:9] offset1:1
	ds_write_b64 v173, v[4:5] offset:16
	s_and_saveexec_b64 s[0:1], vcc
	s_cbranch_execz .LBB0_7
; %bb.6:
	v_pk_add_f32 v[0:1], v[0:1], v[2:3]
	v_lshl_add_u32 v4, v174, 3, v170
	v_pk_add_f32 v[0:1], v[0:1], v[32:33]
	v_mov_b32_e32 v2, v78
	v_mov_b32_e32 v3, v77
	ds_write2_b64 v4, v[0:1], v[2:3] offset1:1
	v_mov_b32_e32 v0, v76
	v_mov_b32_e32 v1, v79
	ds_write_b64 v4, v[0:1] offset:16
.LBB0_7:
	s_or_b64 exec, exec, s[0:1]
	s_movk_i32 s0, 0xab
	v_mul_lo_u16_sdwa v0, v126, s0 dst_sel:DWORD dst_unused:UNUSED_PAD src0_sel:BYTE_0 src1_sel:DWORD
	v_lshrrev_b16_e32 v71, 9, v0
	v_mul_lo_u16_e32 v0, 3, v71
	v_sub_u16_e32 v0, v126, v0
	v_and_b32_e32 v94, 0xff, v0
	s_movk_i32 s0, 0x78
	v_mov_b64_e32 v[0:1], s[10:11]
	v_mad_u64_u32 v[24:25], s[0:1], v94, s0, v[0:1]
	s_waitcnt lgkmcnt(0)
	; wave barrier
	s_waitcnt lgkmcnt(0)
	global_load_dwordx4 v[12:15], v[24:25], off
	global_load_dwordx4 v[8:11], v[24:25], off offset:16
	global_load_dwordx4 v[0:3], v[24:25], off offset:32
	global_load_dwordx3 v[104:106], v[24:25], off offset:48
	global_load_dwordx4 v[4:7], v[24:25], off offset:76
	global_load_dwordx4 v[20:23], v[24:25], off offset:92
	;; [unrolled: 1-line block ×3, first 2 shown]
	global_load_dwordx3 v[100:102], v[24:25], off offset:108
	ds_read2_b64 v[24:27], v107 offset0:54 offset1:81
	ds_read2_b64 v[28:31], v107 offset0:162 offset1:189
	;; [unrolled: 1-line block ×3, first 2 shown]
	v_add_u32_e32 v95, 0x800, v107
	ds_read2_b64 v[36:39], v107 offset1:27
	ds_read2_b64 v[40:43], v107 offset0:108 offset1:135
	ds_read2_b64 v[44:47], v95 offset0:14 offset1:41
	;; [unrolled: 1-line block ×4, first 2 shown]
	s_waitcnt lgkmcnt(4)
	v_mov_b32_e32 v56, v39
	v_mov_b32_e32 v60, v25
	v_mov_b32_e32 v61, v27
	s_waitcnt lgkmcnt(3)
	v_mov_b32_e32 v63, v42
	v_mov_b32_e32 v66, v29
	;; [unrolled: 1-line block ×10, first 2 shown]
	s_mov_b32 s0, 0x3f3504f3
	s_mov_b32 s14, 0x3ec3ef15
	;; [unrolled: 1-line block ×3, first 2 shown]
	s_waitcnt lgkmcnt(0)
	; wave barrier
	s_waitcnt vmcnt(7) lgkmcnt(0)
	v_mov_b32_e32 v70, v13
	s_waitcnt vmcnt(6)
	v_mov_b32_e32 v151, v8
	v_pk_mul_f32 v[68:69], v[38:39], v[12:13]
	s_waitcnt vmcnt(4)
	v_mov_b32_e32 v149, v104
	v_pk_mul_f32 v[74:75], v[42:43], v[0:1] op_sel:[1,0] op_sel_hi:[0,1]
	s_waitcnt vmcnt(3)
	v_mov_b32_e32 v146, v7
	s_waitcnt vmcnt(2)
	v_mov_b32_e32 v147, v20
	v_mov_b32_e32 v81, v8
	;; [unrolled: 1-line block ×7, first 2 shown]
	v_pk_mul_f32 v[38:39], v[38:39], v[70:71]
	v_mov_b32_e32 v150, v15
	v_mov_b32_e32 v15, v9
	v_pk_mul_f32 v[86:87], v[52:53], v[146:147] op_sel:[1,0] op_sel_hi:[0,1]
	v_pk_mul_f32 v[92:93], v[60:61], v[8:9]
	v_mov_b32_e32 v61, v26
	v_pk_mul_f32 v[42:43], v[42:43], v[84:85]
	v_pk_mul_f32 v[84:85], v[66:67], v[104:105]
	v_mov_b32_e32 v67, v30
	v_pk_fma_f32 v[30:31], v[56:57], v[12:13], v[38:39]
	v_mov_b32_e32 v148, v3
	v_mov_b32_e32 v82, v10
	;; [unrolled: 1-line block ×5, first 2 shown]
	v_pk_mul_f32 v[56:57], v[60:61], v[14:15]
	s_waitcnt vmcnt(1)
	v_mul_f32_e32 v27, v35, v18
	v_pk_fma_f32 v[42:43], v[62:63], v[82:83], v[42:43] neg_lo:[0,0,1] neg_hi:[0,0,1]
	v_pk_mul_f32 v[60:61], v[66:67], v[2:3]
	v_pk_fma_f32 v[62:63], v[52:53], v[146:147], v[30:31] op_sel:[1,0,0] op_sel_hi:[0,1,1]
	v_pk_fma_f32 v[24:25], v[24:25], v[150:151], v[56:57]
	v_mul_f32_e32 v8, v33, v16
	v_mul_f32_e32 v57, v34, v17
	v_mov_b32_e32 v56, v68
	v_mov_b32_e32 v26, v69
	v_pk_fma_f32 v[28:29], v[28:29], v[148:149], v[60:61]
	v_fma_f32 v62, v32, v106, -v8
	v_pk_add_f32 v[26:27], v[56:57], v[26:27] neg_lo:[0,1] neg_hi:[0,1]
	v_mov_b32_e32 v56, v32
	v_mov_b32_e32 v57, v35
	v_mov_b32_e32 v32, v33
	v_mov_b32_e32 v33, v34
	v_mov_b32_e32 v34, v106
	v_mov_b32_e32 v35, v18
	v_mov_b32_e32 v60, v45
	v_mov_b32_e32 v61, v47
	v_mov_b32_e32 v66, v4
	v_mov_b32_e32 v67, v6
	v_pk_mul_f32 v[32:33], v[32:33], v[34:35]
	v_mov_b32_e32 v35, v46
	v_pk_mul_f32 v[66:67], v[60:61], v[66:67]
	v_mov_b32_e32 v45, v47
	v_mov_b32_e32 v61, v46
	;; [unrolled: 1-line block ×6, first 2 shown]
	v_pk_fma_f32 v[32:33], v[56:57], v[16:17], v[32:33]
	v_mov_b32_e32 v34, v44
	v_mov_b32_e32 v56, v19
	;; [unrolled: 1-line block ×3, first 2 shown]
	v_pk_mul_f32 v[46:47], v[60:61], v[46:47]
	v_pk_mul_f32 v[88:89], v[54:55], v[144:145] op_sel:[1,0] op_sel_hi:[0,1]
	v_pk_fma_f32 v[34:35], v[34:35], v[56:57], v[66:67] neg_lo:[0,0,1] neg_hi:[0,0,1]
	v_pk_fma_f32 v[44:45], v[44:45], v[4:5], v[46:47]
	v_mov_b32_e32 v47, v54
	v_mov_b32_e32 v57, v21
	;; [unrolled: 1-line block ×6, first 2 shown]
	v_pk_mul_f32 v[20:21], v[54:55], v[20:21]
	v_mov_b32_e32 v54, v49
	v_pk_fma_f32 v[20:21], v[46:47], v[56:57], v[20:21] neg_lo:[0,0,1] neg_hi:[0,0,1]
	v_mov_b32_e32 v55, v51
	s_waitcnt vmcnt(0)
	v_mov_b32_e32 v56, v100
	v_mov_b32_e32 v57, v102
	v_pk_mul_f32 v[72:73], v[40:41], v[10:11] op_sel:[1,0] op_sel_hi:[0,1]
	v_mov_b32_e32 v47, v50
	v_pk_mul_f32 v[56:57], v[54:55], v[56:57]
	v_mov_b32_e32 v49, v51
	v_mov_b32_e32 v55, v50
	;; [unrolled: 1-line block ×14, first 2 shown]
	v_pk_mul_f32 v[50:51], v[54:55], v[50:51]
	v_pk_fma_f32 v[38:39], v[40:41], v[10:11], v[70:71] op_sel:[1,0,0] op_sel_hi:[0,1,1]
	v_pk_fma_f32 v[40:41], v[58:59], v[80:81], v[92:93] neg_lo:[0,0,1] neg_hi:[0,0,1]
	v_pk_fma_f32 v[58:59], v[64:65], v[72:73], v[84:85] neg_lo:[0,0,1] neg_hi:[0,0,1]
	v_pk_add_f32 v[64:65], v[90:91], v[88:89]
	v_pk_fma_f32 v[46:47], v[46:47], v[52:53], v[56:57] neg_lo:[0,0,1] neg_hi:[0,0,1]
	v_pk_fma_f32 v[48:49], v[48:49], v[100:101], v[50:51]
	v_pk_add_f32 v[46:47], v[58:59], v[46:47] neg_lo:[0,1] neg_hi:[0,1]
	v_pk_add_f32 v[48:49], v[28:29], v[48:49] neg_lo:[0,1] neg_hi:[0,1]
	v_mov_b32_e32 v50, v26
	v_mov_b32_e32 v51, v64
	;; [unrolled: 1-line block ×6, first 2 shown]
	v_pk_add_f32 v[20:21], v[42:43], v[20:21] neg_lo:[0,1] neg_hi:[0,1]
	v_pk_add_f32 v[50:51], v[50:51], v[52:53] neg_lo:[0,1] neg_hi:[0,1]
	v_mov_b32_e32 v27, v30
	v_mov_b32_e32 v56, v36
	;; [unrolled: 1-line block ×3, first 2 shown]
	v_pk_add_f32 v[30:31], v[60:61], v[32:33] neg_lo:[0,1] neg_hi:[0,1]
	v_mov_b32_e32 v66, v58
	v_mov_b32_e32 v67, v28
	;; [unrolled: 1-line block ×4, first 2 shown]
	v_pk_add_f32 v[56:57], v[56:57], v[62:63] neg_lo:[0,1] neg_hi:[0,1]
	v_mov_b32_e32 v60, v42
	v_pk_fma_f32 v[66:67], v[66:67], 2.0, v[68:69] op_sel_hi:[1,0,1] neg_lo:[0,0,1] neg_hi:[0,0,1]
	v_mov_b32_e32 v68, v50
	v_mov_b32_e32 v69, v31
	;; [unrolled: 1-line block ×9, first 2 shown]
	v_pk_fma_f32 v[26:27], v[26:27], 2.0, v[68:69] op_sel_hi:[1,0,1] neg_lo:[0,0,1] neg_hi:[0,0,1]
	v_pk_fma_f32 v[42:43], v[42:43], 2.0, v[64:65] op_sel_hi:[1,0,1] neg_lo:[0,0,1] neg_hi:[0,0,1]
	v_pk_add_f32 v[34:35], v[40:41], v[34:35] neg_lo:[0,1] neg_hi:[0,1]
	v_pk_add_f32 v[44:45], v[24:25], v[44:45] neg_lo:[0,1] neg_hi:[0,1]
	v_pk_fma_f32 v[38:39], v[60:61], 2.0, v[38:39] op_sel_hi:[1,0,1] neg_lo:[0,0,1] neg_hi:[0,0,1]
	v_mov_b32_e32 v60, v40
	v_mov_b32_e32 v61, v24
	;; [unrolled: 1-line block ×3, first 2 shown]
	v_pk_add_f32 v[40:41], v[26:27], v[42:43] neg_lo:[0,1] neg_hi:[0,1]
	v_mov_b32_e32 v42, v56
	v_mov_b32_e32 v43, v50
	;; [unrolled: 1-line block ×3, first 2 shown]
	v_pk_add_f32 v[52:53], v[34:35], v[48:49] neg_lo:[0,1] neg_hi:[0,1]
	v_pk_add_f32 v[42:43], v[42:43], v[50:51] neg_lo:[0,1] neg_hi:[0,1]
	v_pk_add_f32 v[54:55], v[44:45], v[46:47]
	v_mul_u32_u24_e32 v8, 48, v71
	v_mov_b32_e32 v48, v47
	v_pk_add_f32 v[20:21], v[30:31], v[20:21]
	v_pk_fma_f32 v[46:47], v[52:53], s[0:1], v[42:43] op_sel_hi:[1,0,1]
	v_or_b32_e32 v8, v8, v94
	v_mov_b32_e32 v62, v34
	v_mov_b32_e32 v63, v44
	v_pk_fma_f32 v[46:47], v[54:55], s[0:1], v[46:47] op_sel_hi:[1,0,1] neg_lo:[1,0,0] neg_hi:[1,0,0]
	v_pk_fma_f32 v[50:51], v[54:55], s[0:1], v[20:21] op_sel_hi:[1,0,1]
	v_mov_b32_e32 v64, v52
	v_mov_b32_e32 v65, v54
	v_lshl_add_u32 v175, v8, 3, v170
	v_mov_b32_e32 v32, v56
	v_mov_b32_e32 v33, v30
	v_pk_fma_f32 v[60:61], v[60:61], 2.0, v[62:63] op_sel_hi:[1,0,1] neg_lo:[0,0,1] neg_hi:[0,0,1]
	v_mov_b32_e32 v44, v35
	v_mov_b32_e32 v28, v59
	v_fma_f32 v8, v43, 2.0, -v47
	v_pk_fma_f32 v[50:51], v[52:53], s[0:1], v[50:51] op_sel_hi:[1,0,1]
	v_pk_fma_f32 v[62:63], v[62:63], 2.0, v[64:65] op_sel_hi:[1,0,1] neg_lo:[0,0,1] neg_hi:[0,0,1]
	v_mov_b32_e32 v54, v53
	v_mov_b32_e32 v64, v43
	;; [unrolled: 1-line block ×4, first 2 shown]
	v_pk_fma_f32 v[24:25], v[24:25], 2.0, v[44:45] op_sel_hi:[1,0,1] neg_lo:[0,0,1] neg_hi:[0,0,1]
	v_pk_fma_f32 v[28:29], v[28:29], 2.0, v[48:49] op_sel_hi:[1,0,1] neg_lo:[0,0,1] neg_hi:[0,0,1]
	v_fma_f32 v48, v20, 2.0, -v50
	v_fma_f32 v58, v21, 2.0, -v51
	v_pk_fma_f32 v[44:45], v[44:45], 2.0, v[54:55] op_sel_hi:[1,0,1] neg_lo:[0,0,1] neg_hi:[0,0,1]
	v_pk_fma_f32 v[64:65], v[68:69], 2.0, v[64:65] op_sel_hi:[1,0,1] neg_lo:[0,0,1] neg_hi:[0,0,1]
	;; [unrolled: 1-line block ×4, first 2 shown]
	v_pk_mul_f32 v[52:53], v[62:63], s[0:1] op_sel_hi:[1,0]
	v_pk_mul_f32 v[54:55], v[44:45], s[0:1] op_sel_hi:[1,0]
	v_pk_fma_f32 v[44:45], v[44:45], s[0:1], v[64:65] op_sel_hi:[1,0,1] neg_lo:[1,0,0] neg_hi:[1,0,0]
	v_pk_fma_f32 v[32:33], v[62:63], s[0:1], v[20:21] op_sel_hi:[1,0,1] neg_lo:[1,0,0] neg_hi:[1,0,0]
	v_pk_add_f32 v[30:31], v[60:61], v[66:67] neg_lo:[0,1] neg_hi:[0,1]
	v_fma_f32 v22, v42, 2.0, -v46
	v_pk_add_f32 v[66:67], v[44:45], v[54:55] op_sel:[0,1] op_sel_hi:[1,0] neg_lo:[0,1] neg_hi:[0,1]
	v_pk_add_f32 v[44:45], v[44:45], v[54:55] op_sel:[0,1] op_sel_hi:[1,0]
	v_pk_add_f32 v[42:43], v[32:33], v[52:53] op_sel:[0,1] op_sel_hi:[1,0] neg_lo:[0,1] neg_hi:[0,1]
	v_pk_add_f32 v[32:33], v[32:33], v[52:53] op_sel:[0,1] op_sel_hi:[1,0]
	v_pk_add_f32 v[34:35], v[36:37], v[38:39] neg_lo:[0,1] neg_hi:[0,1]
	v_pk_add_f32 v[28:29], v[24:25], v[28:29] neg_lo:[0,1] neg_hi:[0,1]
	v_mov_b32_e32 v67, v45
	v_mov_b32_e32 v43, v33
	v_pk_fma_f32 v[36:37], v[36:37], 2.0, v[34:35] op_sel_hi:[1,0,1] neg_lo:[0,0,1] neg_hi:[0,0,1]
	v_pk_fma_f32 v[38:39], v[60:61], 2.0, v[30:31] op_sel_hi:[1,0,1] neg_lo:[0,0,1] neg_hi:[0,0,1]
	;; [unrolled: 1-line block ×6, first 2 shown]
	v_pk_add_f32 v[38:39], v[36:37], v[38:39] neg_lo:[0,1] neg_hi:[0,1]
	v_pk_add_f32 v[24:25], v[26:27], v[24:25] neg_lo:[0,1] neg_hi:[0,1]
	v_pk_fma_f32 v[54:55], v[52:53], s[16:17], v[20:21] op_sel_hi:[1,0,1]
	v_pk_mul_f32 v[52:53], v[52:53], s[14:15] op_sel_hi:[1,0]
	v_pk_fma_f32 v[36:37], v[36:37], 2.0, v[38:39] op_sel_hi:[1,0,1] neg_lo:[0,0,1] neg_hi:[0,0,1]
	v_pk_fma_f32 v[26:27], v[26:27], 2.0, v[24:25] op_sel_hi:[1,0,1] neg_lo:[0,0,1] neg_hi:[0,0,1]
	v_pk_add_f32 v[62:63], v[54:55], v[52:53] op_sel:[0,1] op_sel_hi:[1,0] neg_lo:[0,1] neg_hi:[0,1]
	v_pk_add_f32 v[52:53], v[54:55], v[52:53] op_sel:[0,1] op_sel_hi:[1,0]
	v_pk_add_f32 v[26:27], v[36:37], v[26:27] neg_lo:[0,1] neg_hi:[0,1]
	v_mov_b32_e32 v63, v53
	v_pk_fma_f32 v[36:37], v[36:37], 2.0, v[26:27] op_sel_hi:[1,0,1] neg_lo:[0,0,1] neg_hi:[0,0,1]
	v_pk_fma_f32 v[20:21], v[20:21], 2.0, v[62:63] op_sel_hi:[1,0,1] neg_lo:[0,0,1] neg_hi:[0,0,1]
	ds_write2_b64 v175, v[36:37], v[20:21] offset1:3
	v_pk_add_f32 v[20:21], v[34:35], v[30:31] op_sel:[0,1] op_sel_hi:[1,0] neg_lo:[0,1] neg_hi:[0,1]
	v_pk_add_f32 v[30:31], v[34:35], v[30:31] op_sel:[0,1] op_sel_hi:[1,0]
	v_fmamk_f32 v56, v8, 0xbec3ef15, v22
	v_mov_b32_e32 v21, v31
	v_pk_fma_f32 v[30:31], v[34:35], 2.0, v[20:21] op_sel_hi:[1,0,1] neg_lo:[0,0,1] neg_hi:[0,0,1]
	v_pk_add_f32 v[34:35], v[40:41], v[28:29] op_sel:[0,1] op_sel_hi:[1,0] neg_lo:[0,1] neg_hi:[0,1]
	v_pk_add_f32 v[28:29], v[40:41], v[28:29] op_sel:[0,1] op_sel_hi:[1,0]
	v_fmamk_f32 v57, v58, 0xbec3ef15, v48
	v_mov_b32_e32 v35, v29
	v_pk_fma_f32 v[28:29], v[40:41], 2.0, v[34:35] op_sel_hi:[1,0,1] neg_lo:[0,0,1] neg_hi:[0,0,1]
	v_fmac_f32_e32 v56, 0xbf6c835e, v58
	v_pk_mul_f32 v[36:37], v[28:29], s[0:1] op_sel_hi:[1,0]
	v_pk_fma_f32 v[28:29], v[28:29], s[0:1], v[30:31] op_sel_hi:[1,0,1] neg_lo:[1,0,0] neg_hi:[1,0,0]
	v_fmac_f32_e32 v57, 0x3f6c835e, v8
	v_pk_add_f32 v[40:41], v[28:29], v[36:37] op_sel:[0,1] op_sel_hi:[1,0] neg_lo:[0,1] neg_hi:[0,1]
	v_pk_add_f32 v[28:29], v[28:29], v[36:37] op_sel:[0,1] op_sel_hi:[1,0]
	v_fma_f32 v58, v22, 2.0, -v56
	v_mov_b32_e32 v41, v29
	v_fma_f32 v59, v48, 2.0, -v57
	v_pk_fma_f32 v[28:29], v[30:31], 2.0, v[40:41] op_sel_hi:[1,0,1] neg_lo:[0,0,1] neg_hi:[0,0,1]
	v_fmamk_f32 v52, v66, 0x3ec3ef15, v42
	v_fmamk_f32 v53, v45, 0x3ec3ef15, v33
	ds_write2_b64 v175, v[28:29], v[58:59] offset0:6 offset1:9
	v_pk_add_f32 v[28:29], v[38:39], v[24:25] op_sel:[0,1] op_sel_hi:[1,0] neg_lo:[0,1] neg_hi:[0,1]
	v_pk_add_f32 v[24:25], v[38:39], v[24:25] op_sel:[0,1] op_sel_hi:[1,0]
	v_fmac_f32_e32 v52, 0xbf6c835e, v45
	v_fmac_f32_e32 v53, 0x3f6c835e, v66
	v_mov_b32_e32 v29, v25
	v_fma_f32 v32, v42, 2.0, -v52
	v_fma_f32 v33, v33, 2.0, -v53
	v_pk_fma_f32 v[24:25], v[38:39], 2.0, v[28:29] op_sel_hi:[1,0,1] neg_lo:[0,0,1] neg_hi:[0,0,1]
	ds_write2_b64 v175, v[24:25], v[32:33] offset0:12 offset1:15
	v_pk_mul_f32 v[24:25], v[34:35], s[0:1] op_sel_hi:[1,0]
	v_pk_fma_f32 v[30:31], v[34:35], s[0:1], v[20:21] op_sel_hi:[1,0,1]
	v_mul_f32_e32 v49, 0x3ec3ef15, v47
	v_pk_add_f32 v[32:33], v[30:31], v[24:25] op_sel:[0,1] op_sel_hi:[1,0] neg_lo:[0,1] neg_hi:[0,1]
	v_pk_add_f32 v[24:25], v[30:31], v[24:25] op_sel:[0,1] op_sel_hi:[1,0]
	v_fmamk_f32 v48, v47, 0x3f6c835e, v46
	v_fmamk_f32 v61, v51, 0x3f6c835e, v50
	v_mul_f32_e32 v60, 0x3ec3ef15, v51
	v_mov_b32_e32 v33, v25
	v_pk_fma_f32 v[24:25], v[20:21], 2.0, v[32:33] op_sel_hi:[1,0,1] neg_lo:[0,0,1] neg_hi:[0,0,1]
	v_pk_add_f32 v[20:21], v[48:49], v[60:61] neg_lo:[0,1] neg_hi:[0,1]
	v_pk_add_f32 v[30:31], v[48:49], v[60:61]
	v_mov_b32_e32 v47, v50
	v_mov_b32_e32 v21, v31
	v_pk_fma_f32 v[30:31], v[46:47], 2.0, v[20:21] op_sel_hi:[1,0,1] neg_lo:[0,0,1] neg_hi:[0,0,1]
	ds_write2_b64 v175, v[24:25], v[30:31] offset0:18 offset1:21
	ds_write2_b64 v175, v[26:27], v[62:63] offset0:24 offset1:27
	;; [unrolled: 1-line block ×5, first 2 shown]
	s_waitcnt lgkmcnt(0)
	; wave barrier
	s_waitcnt lgkmcnt(0)
	ds_read2_b64 v[68:71], v107 offset1:27
	ds_read2_b64 v[36:39], v107 offset0:108 offset1:144
	ds_read2_b64 v[72:75], v95 offset0:32 offset1:59
	;; [unrolled: 1-line block ×6, first 2 shown]
	ds_read_b64 v[80:81], v107 offset:3168
	v_mov_b32_e32 v104, v19
	v_mov_b32_e32 v8, v23
	s_and_saveexec_b64 s[0:1], s[2:3]
	s_xor_b64 s[0:1], exec, s[0:1]
	s_andn2_saveexec_b64 s[0:1], s[0:1]
	s_cbranch_execz .LBB0_9
; %bb.8:
	v_add_u32_e32 v20, 0x400, v107
	ds_read_b64 v[76:77], v107 offset:3384
	ds_read2_b64 v[20:23], v20 offset0:7 offset1:151
	s_waitcnt lgkmcnt(1)
	v_mov_b32_e32 v79, v77
	s_waitcnt lgkmcnt(0)
	v_mov_b32_e32 v78, v22
	v_mov_b32_e32 v77, v23
.LBB0_9:
	s_or_b64 exec, exec, s[0:1]
	s_movk_i32 s0, 0xffeb
	s_mov_b32 s1, -1
	v_lshl_add_u64 v[28:29], v[126:127], 0, s[0:1]
	v_cmp_gt_u16_e64 s[0:1], 21, v126
	v_lshlrev_b32_e32 v22, 4, v126
	global_load_dwordx4 v[24:27], v22, s[10:11] offset:360
	v_cndmask_b32_e64 v53, v29, v163, s[0:1]
	v_cndmask_b32_e64 v52, v28, v162, s[0:1]
	s_movk_i32 s0, 0xab
	v_mul_lo_u16_sdwa v23, v158, s0 dst_sel:DWORD dst_unused:UNUSED_PAD src0_sel:BYTE_0 src1_sel:DWORD
	v_lshrrev_b16_e32 v23, 13, v23
	v_mul_lo_u16_e32 v23, 48, v23
	v_lshl_add_u64 v[28:29], v[52:53], 4, s[10:11]
	v_sub_u16_e32 v163, v158, v23
	global_load_dwordx4 v[28:31], v[28:29], off offset:360
	v_and_b32_e32 v82, 0xff, v163
	v_lshlrev_b32_e32 v23, 4, v82
	global_load_dwordx4 v[32:35], v23, s[10:11] offset:360
	v_add_u32_e32 v83, 6, v126
	v_lshlrev_b32_e32 v40, 4, v83
	global_load_dwordx4 v[40:43], v40, s[10:11] offset:360
	v_mul_lo_u16_sdwa v55, v154, s0 dst_sel:DWORD dst_unused:UNUSED_PAD src0_sel:BYTE_0 src1_sel:DWORD
	v_mul_lo_u16_sdwa v56, v156, s0 dst_sel:DWORD dst_unused:UNUSED_PAD src0_sel:BYTE_0 src1_sel:DWORD
	v_mov_b32_e32 v54, 0x90
	v_cmp_lt_u16_e64 s[0:1], 20, v126
	v_lshrrev_b16_e32 v92, 13, v55
	v_lshrrev_b16_e32 v55, 13, v56
	v_cndmask_b32_e64 v54, 0, v54, s[0:1]
	v_mul_lo_u16_e32 v55, 48, v55
	v_mul_lo_u16_e32 v56, 48, v92
	v_add_u32_e32 v52, v52, v54
	v_sub_u16_e32 v54, v156, v55
	v_mov_b32_e32 v53, 4
	v_sub_u16_e32 v93, v154, v56
	v_and_b32_e32 v94, 0xff, v54
	v_lshl_add_u32 v176, v52, 3, v170
	v_lshlrev_b32_sdwa v52, v53, v93 dst_sel:DWORD dst_unused:UNUSED_PAD src0_sel:DWORD src1_sel:BYTE_0
	v_lshlrev_b32_e32 v53, 4, v94
	global_load_dwordx4 v[56:59], v52, s[10:11] offset:360
	s_nop 0
	global_load_dwordx4 v[52:55], v53, s[10:11] offset:360
	s_mov_b32 s14, 0x3f5db3d7
	s_waitcnt lgkmcnt(0)
	; wave barrier
	s_waitcnt lgkmcnt(0)
	v_lshl_add_u32 v177, v83, 3, v170
	v_lshl_add_u32 v179, v94, 3, v170
	v_mov_b32_e32 v23, 0
	s_waitcnt vmcnt(5)
	v_pk_mul_f32 v[84:85], v[38:39], v[24:25] op_sel:[0,1]
	v_mov_b32_e32 v86, v27
	v_pk_fma_f32 v[88:89], v[38:39], v[24:25], v[84:85] op_sel:[0,0,1] op_sel_hi:[1,1,0] neg_lo:[0,0,1] neg_hi:[0,0,1]
	v_pk_fma_f32 v[38:39], v[38:39], v[24:25], v[84:85] op_sel:[0,0,1] op_sel_hi:[1,0,0]
	v_pk_mul_f32 v[84:85], v[72:73], v[86:87] op_sel_hi:[1,0]
	v_mov_b32_e32 v89, v39
	v_pk_fma_f32 v[38:39], v[72:73], v[26:27], v[84:85] op_sel:[0,0,1] op_sel_hi:[1,1,0] neg_lo:[0,0,1] neg_hi:[0,0,1]
	v_pk_fma_f32 v[72:73], v[72:73], v[26:27], v[84:85] op_sel:[0,0,1] op_sel_hi:[1,0,0]
	s_waitcnt vmcnt(4)
	v_pk_mul_f32 v[84:85], v[64:65], v[28:29] op_sel:[0,1]
	v_mov_b32_e32 v39, v73
	v_pk_add_f32 v[72:73], v[68:69], v[88:89]
	v_mov_b32_e32 v86, v31
	v_pk_add_f32 v[72:73], v[72:73], v[38:39]
	v_pk_add_f32 v[90:91], v[88:89], v[38:39]
	v_pk_add_f32 v[38:39], v[88:89], v[38:39] neg_lo:[0,1] neg_hi:[0,1]
	v_pk_fma_f32 v[88:89], v[64:65], v[28:29], v[84:85] op_sel:[0,0,1] op_sel_hi:[1,1,0] neg_lo:[0,0,1] neg_hi:[0,0,1]
	v_pk_fma_f32 v[64:65], v[64:65], v[28:29], v[84:85] op_sel:[0,0,1] op_sel_hi:[1,0,0]
	v_pk_mul_f32 v[84:85], v[74:75], v[86:87] op_sel_hi:[1,0]
	v_pk_fma_f32 v[68:69], v[90:91], 0.5, v[68:69] op_sel_hi:[1,0,1] neg_lo:[1,0,0] neg_hi:[1,0,0]
	v_pk_mul_f32 v[38:39], v[38:39], s[14:15] op_sel_hi:[1,0]
	v_mov_b32_e32 v89, v65
	v_pk_fma_f32 v[64:65], v[74:75], v[30:31], v[84:85] op_sel:[0,0,1] op_sel_hi:[1,1,0] neg_lo:[0,0,1] neg_hi:[0,0,1]
	v_pk_fma_f32 v[74:75], v[74:75], v[30:31], v[84:85] op_sel:[0,0,1] op_sel_hi:[1,0,0]
	s_waitcnt vmcnt(3)
	v_pk_mul_f32 v[84:85], v[76:77], v[32:33] op_sel:[1,0]
	v_pk_mul_f32 v[86:87], v[78:79], v[34:35] op_sel:[1,0]
	v_pk_add_f32 v[90:91], v[68:69], v[38:39] op_sel:[0,1] op_sel_hi:[1,0] neg_lo:[0,1] neg_hi:[0,1]
	v_pk_add_f32 v[38:39], v[68:69], v[38:39] op_sel:[0,1] op_sel_hi:[1,0]
	v_mov_b32_e32 v65, v75
	v_pk_fma_f32 v[74:75], v[78:79], v[32:33], v[84:85] op_sel:[0,0,1] op_sel_hi:[1,1,0] neg_lo:[0,0,1] neg_hi:[0,0,1]
	v_pk_fma_f32 v[78:79], v[78:79], v[32:33], v[84:85] op_sel:[0,0,1] op_sel_hi:[0,1,0]
	v_pk_fma_f32 v[84:85], v[76:77], v[34:35], v[86:87] op_sel:[0,0,1] op_sel_hi:[1,1,0] neg_lo:[0,0,1] neg_hi:[0,0,1]
	v_pk_fma_f32 v[76:77], v[76:77], v[34:35], v[86:87] op_sel:[0,0,1] op_sel_hi:[0,1,0]
	v_pk_add_f32 v[68:69], v[70:71], v[88:89]
	v_mov_b32_e32 v86, v38
	v_mov_b32_e32 v87, v91
	;; [unrolled: 1-line block ×5, first 2 shown]
	v_pk_add_f32 v[38:39], v[68:69], v[64:65]
	ds_write2_b64 v107, v[72:73], v[86:87] offset1:48
	ds_write_b64 v107, v[90:91] offset:768
	v_pk_add_f32 v[68:69], v[20:21], v[74:75]
	v_pk_add_f32 v[72:73], v[74:75], v[84:85]
	v_pk_add_f32 v[74:75], v[74:75], v[84:85] neg_lo:[0,1] neg_hi:[0,1]
	v_pk_fma_f32 v[20:21], v[72:73], 0.5, v[20:21] op_sel_hi:[1,0,1] neg_lo:[1,0,0] neg_hi:[1,0,0]
	v_pk_mul_f32 v[72:73], v[74:75], s[14:15] op_sel_hi:[1,0]
	v_pk_add_f32 v[68:69], v[68:69], v[84:85]
	v_pk_add_f32 v[164:165], v[20:21], v[72:73] op_sel:[0,1] op_sel_hi:[1,0] neg_lo:[0,1] neg_hi:[0,1]
	v_pk_add_f32 v[166:167], v[72:73], v[20:21] op_sel:[1,0] op_sel_hi:[0,1]
	v_pk_add_f32 v[20:21], v[88:89], v[64:65]
	v_pk_add_f32 v[64:65], v[88:89], v[64:65] neg_lo:[0,1] neg_hi:[0,1]
	v_pk_fma_f32 v[20:21], v[20:21], 0.5, v[70:71] op_sel_hi:[1,0,1] neg_lo:[1,0,0] neg_hi:[1,0,0]
	v_pk_mul_f32 v[64:65], v[64:65], s[14:15] op_sel_hi:[1,0]
	s_nop 0
	v_pk_add_f32 v[70:71], v[20:21], v[64:65] op_sel:[0,1] op_sel_hi:[1,0]
	v_pk_add_f32 v[20:21], v[20:21], v[64:65] op_sel:[0,1] op_sel_hi:[1,0] neg_lo:[0,1] neg_hi:[0,1]
	v_mov_b32_e32 v64, v70
	v_mov_b32_e32 v65, v21
	;; [unrolled: 1-line block ×3, first 2 shown]
	ds_write_b64 v176, v[20:21] offset:768
	s_waitcnt vmcnt(2)
	v_pk_mul_f32 v[20:21], v[66:67], v[40:41] op_sel:[0,1]
	ds_write2_b64 v176, v[38:39], v[64:65] offset1:48
	v_pk_fma_f32 v[38:39], v[66:67], v[40:41], v[20:21] op_sel:[0,0,1] op_sel_hi:[1,1,0] neg_lo:[0,0,1] neg_hi:[0,0,1]
	v_pk_fma_f32 v[20:21], v[66:67], v[40:41], v[20:21] op_sel:[0,0,1] op_sel_hi:[1,0,0]
	s_nop 0
	v_mov_b32_e32 v20, v43
	v_mov_b32_e32 v39, v21
	v_pk_mul_f32 v[20:21], v[60:61], v[20:21] op_sel_hi:[1,0]
	s_nop 0
	v_pk_fma_f32 v[64:65], v[60:61], v[42:43], v[20:21] op_sel:[0,0,1] op_sel_hi:[1,1,0] neg_lo:[0,0,1] neg_hi:[0,0,1]
	v_pk_fma_f32 v[20:21], v[60:61], v[42:43], v[20:21] op_sel:[0,0,1] op_sel_hi:[1,0,0]
	s_nop 0
	v_mov_b32_e32 v65, v21
	v_pk_add_f32 v[20:21], v[38:39], v[64:65]
	v_pk_add_f32 v[60:61], v[38:39], v[64:65] neg_lo:[0,1] neg_hi:[0,1]
	v_pk_fma_f32 v[20:21], v[20:21], 0.5, v[48:49] op_sel_hi:[1,0,1] neg_lo:[1,0,0] neg_hi:[1,0,0]
	v_pk_mul_f32 v[60:61], v[60:61], s[14:15] op_sel_hi:[1,0]
	v_pk_add_f32 v[38:39], v[48:49], v[38:39]
	v_pk_add_f32 v[66:67], v[20:21], v[60:61] op_sel:[0,1] op_sel_hi:[1,0] neg_lo:[0,1] neg_hi:[0,1]
	v_pk_add_f32 v[20:21], v[20:21], v[60:61] op_sel:[0,1] op_sel_hi:[1,0]
	v_pk_add_f32 v[38:39], v[38:39], v[64:65]
	ds_write_b64 v107, v[38:39] offset:1200
	v_mov_b32_e32 v38, v20
	v_mul_u32_u24_e32 v20, 0x90, v92
	v_add_u32_sdwa v20, v20, v93 dst_sel:DWORD dst_unused:UNUSED_PAD src0_sel:DWORD src1_sel:BYTE_0
	v_mov_b32_e32 v39, v67
	v_mov_b32_e32 v67, v21
	v_lshl_add_u32 v178, v20, 3, v170
	s_waitcnt vmcnt(1)
	v_pk_mul_f32 v[20:21], v[44:45], v[56:57] op_sel:[0,1]
	ds_write_b64 v177, v[38:39] offset:1536
	v_pk_fma_f32 v[38:39], v[44:45], v[56:57], v[20:21] op_sel:[0,0,1] op_sel_hi:[1,1,0] neg_lo:[0,0,1] neg_hi:[0,0,1]
	v_pk_fma_f32 v[20:21], v[44:45], v[56:57], v[20:21] op_sel:[0,0,1] op_sel_hi:[1,0,0]
	ds_write_b64 v107, v[66:67] offset:1968
	v_mov_b32_e32 v20, v59
	v_mov_b32_e32 v39, v21
	v_pk_mul_f32 v[20:21], v[62:63], v[20:21] op_sel_hi:[1,0]
	s_nop 0
	v_pk_fma_f32 v[44:45], v[62:63], v[58:59], v[20:21] op_sel:[0,0,1] op_sel_hi:[1,1,0] neg_lo:[0,0,1] neg_hi:[0,0,1]
	v_pk_fma_f32 v[20:21], v[62:63], v[58:59], v[20:21] op_sel:[0,0,1] op_sel_hi:[1,0,0]
	s_nop 0
	v_mov_b32_e32 v45, v21
	v_pk_add_f32 v[20:21], v[50:51], v[38:39]
	v_pk_add_f32 v[48:49], v[38:39], v[44:45]
	v_pk_add_f32 v[38:39], v[38:39], v[44:45] neg_lo:[0,1] neg_hi:[0,1]
	v_pk_fma_f32 v[48:49], v[48:49], 0.5, v[50:51] op_sel_hi:[1,0,1] neg_lo:[1,0,0] neg_hi:[1,0,0]
	v_pk_mul_f32 v[38:39], v[38:39], s[14:15] op_sel_hi:[1,0]
	v_pk_add_f32 v[20:21], v[20:21], v[44:45]
	v_pk_add_f32 v[44:45], v[48:49], v[38:39] op_sel:[0,1] op_sel_hi:[1,0]
	v_pk_add_f32 v[38:39], v[48:49], v[38:39] op_sel:[0,1] op_sel_hi:[1,0] neg_lo:[0,1] neg_hi:[0,1]
	v_mov_b32_e32 v48, v44
	v_mov_b32_e32 v49, v39
	ds_write2_b64 v178, v[20:21], v[48:49] offset1:48
	v_mov_b32_e32 v39, v45
	s_waitcnt vmcnt(0)
	v_pk_mul_f32 v[20:21], v[46:47], v[52:53] op_sel:[0,1]
	ds_write_b64 v178, v[38:39] offset:768
	v_pk_fma_f32 v[38:39], v[46:47], v[52:53], v[20:21] op_sel:[0,0,1] op_sel_hi:[1,1,0] neg_lo:[0,0,1] neg_hi:[0,0,1]
	v_pk_fma_f32 v[20:21], v[46:47], v[52:53], v[20:21] op_sel:[0,0,1] op_sel_hi:[1,0,0]
	s_nop 0
	v_mov_b32_e32 v20, v55
	v_mov_b32_e32 v39, v21
	v_pk_mul_f32 v[20:21], v[80:81], v[20:21] op_sel_hi:[1,0]
	s_nop 0
	v_pk_fma_f32 v[44:45], v[80:81], v[54:55], v[20:21] op_sel:[0,0,1] op_sel_hi:[1,1,0] neg_lo:[0,0,1] neg_hi:[0,0,1]
	v_pk_fma_f32 v[20:21], v[80:81], v[54:55], v[20:21] op_sel:[0,0,1] op_sel_hi:[1,0,0]
	s_nop 0
	v_mov_b32_e32 v45, v21
	v_pk_add_f32 v[20:21], v[36:37], v[38:39]
	v_pk_add_f32 v[46:47], v[38:39], v[44:45]
	v_pk_add_f32 v[38:39], v[38:39], v[44:45] neg_lo:[0,1] neg_hi:[0,1]
	v_pk_fma_f32 v[36:37], v[46:47], 0.5, v[36:37] op_sel_hi:[1,0,1] neg_lo:[1,0,0] neg_hi:[1,0,0]
	v_pk_mul_f32 v[38:39], v[38:39], s[14:15] op_sel_hi:[1,0]
	v_pk_add_f32 v[20:21], v[20:21], v[44:45]
	v_pk_add_f32 v[44:45], v[36:37], v[38:39] op_sel:[0,1] op_sel_hi:[1,0]
	v_pk_add_f32 v[36:37], v[36:37], v[38:39] op_sel:[0,1] op_sel_hi:[1,0] neg_lo:[0,1] neg_hi:[0,1]
	v_mov_b32_e32 v38, v44
	v_mov_b32_e32 v39, v37
	v_add_u32_e32 v37, 0x800, v179
	ds_write2_b64 v37, v[20:21], v[38:39] offset0:32 offset1:80
	v_mov_b32_e32 v37, v45
	ds_write_b64 v179, v[36:37] offset:3072
	s_and_saveexec_b64 s[0:1], vcc
	s_cbranch_execz .LBB0_11
; %bb.10:
	v_lshl_add_u32 v36, v82, 3, v170
	v_mov_b32_e32 v20, v166
	v_mov_b32_e32 v21, v165
	v_add_u32_e32 v37, 0x800, v36
	ds_write2_b64 v37, v[68:69], v[20:21] offset0:32 offset1:80
	v_mov_b32_e32 v20, v164
	v_mov_b32_e32 v21, v167
	ds_write_b64 v36, v[20:21] offset:3072
.LBB0_11:
	s_or_b64 exec, exec, s[0:1]
	v_add_u32_e32 v20, 0x800, v107
	s_waitcnt lgkmcnt(0)
	; wave barrier
	s_waitcnt lgkmcnt(0)
	ds_read2_b64 v[88:91], v107 offset1:27
	ds_read2_b64 v[72:75], v107 offset0:108 offset1:144
	ds_read2_b64 v[92:95], v20 offset0:32 offset1:59
	;; [unrolled: 1-line block ×6, first 2 shown]
	ds_read_b64 v[168:169], v107 offset:3168
	s_and_saveexec_b64 s[0:1], s[2:3]
	s_xor_b64 s[0:1], exec, s[0:1]
	s_or_saveexec_b64 s[0:1], s[0:1]
	v_lshl_add_u64 v[20:21], s[10:11], 0, v[22:23]
	s_xor_b64 exec, exec, s[0:1]
	s_cbranch_execz .LBB0_13
; %bb.12:
	v_add_u32_e32 v22, 0x400, v107
	ds_read_b64 v[164:165], v107 offset:3384
	ds_read2_b64 v[68:71], v22 offset0:7 offset1:151
	s_waitcnt lgkmcnt(1)
	v_mov_b32_e32 v167, v165
	s_waitcnt lgkmcnt(0)
	v_mov_b32_e32 v166, v70
	v_mov_b32_e32 v165, v71
.LBB0_13:
	s_or_b64 exec, exec, s[0:1]
	global_load_dwordx4 v[36:39], v[20:21], off offset:1128
	v_lshlrev_b32_e32 v20, 4, v162
	global_load_dwordx4 v[44:47], v20, s[10:11] offset:1128
	v_lshlrev_b32_e32 v20, 4, v160
	global_load_dwordx4 v[48:51], v20, s[10:11] offset:1128
	v_lshl_add_u64 v[20:21], v[126:127], 0, -9
	v_cndmask_b32_e32 v21, v21, v159, vcc
	v_cndmask_b32_e32 v20, v20, v158, vcc
	v_lshl_add_u64 v[20:21], v[20:21], 4, s[10:11]
	global_load_dwordx4 v[20:23], v[20:21], off offset:1128
	v_lshlrev_b32_e32 v60, 4, v156
	v_lshlrev_b32_e32 v64, 4, v154
	global_load_dwordx4 v[60:63], v60, s[10:11] offset:1128
	s_nop 0
	global_load_dwordx4 v[64:67], v64, s[10:11] offset:1128
	v_lshl_add_u32 v127, v180, 3, v152
	s_mov_b32 s0, 0x3f5db3d7
	s_waitcnt vmcnt(5) lgkmcnt(6)
	v_pk_mul_f32 v[70:71], v[74:75], v[36:37] op_sel:[0,1]
	v_mov_b32_e32 v152, v39
	v_pk_fma_f32 v[154:155], v[74:75], v[36:37], v[70:71] op_sel:[0,0,1] op_sel_hi:[1,1,0] neg_lo:[0,0,1] neg_hi:[0,0,1]
	v_pk_fma_f32 v[70:71], v[74:75], v[36:37], v[70:71] op_sel:[0,0,1] op_sel_hi:[1,0,0]
	s_waitcnt lgkmcnt(5)
	v_pk_mul_f32 v[74:75], v[92:93], v[152:153] op_sel_hi:[1,0]
	s_waitcnt vmcnt(4) lgkmcnt(4)
	v_pk_mul_f32 v[152:153], v[96:97], v[44:45] op_sel:[0,1]
	v_mov_b32_e32 v70, v47
	s_waitcnt vmcnt(3)
	v_pk_mul_f32 v[156:157], v[98:99], v[48:49] op_sel:[0,1]
	v_mov_b32_e32 v158, v51
	v_pk_fma_f32 v[180:181], v[92:93], v[38:39], v[74:75] op_sel:[0,0,1] op_sel_hi:[1,1,0] neg_lo:[0,0,1] neg_hi:[0,0,1]
	v_pk_fma_f32 v[74:75], v[92:93], v[38:39], v[74:75] op_sel:[0,0,1] op_sel_hi:[1,0,0]
	v_mov_b32_e32 v155, v71
	v_pk_fma_f32 v[92:93], v[96:97], v[44:45], v[152:153] op_sel:[0,0,1] op_sel_hi:[1,1,0] neg_lo:[0,0,1] neg_hi:[0,0,1]
	v_pk_fma_f32 v[96:97], v[96:97], v[44:45], v[152:153] op_sel:[0,0,1] op_sel_hi:[1,0,0]
	v_pk_mul_f32 v[70:71], v[94:95], v[70:71] op_sel_hi:[1,0]
	v_pk_fma_f32 v[182:183], v[98:99], v[48:49], v[156:157] op_sel:[0,0,1] op_sel_hi:[1,1,0] neg_lo:[0,0,1] neg_hi:[0,0,1]
	v_pk_fma_f32 v[98:99], v[98:99], v[48:49], v[156:157] op_sel:[0,0,1] op_sel_hi:[1,0,0]
	s_waitcnt lgkmcnt(2)
	v_pk_mul_f32 v[152:153], v[84:85], v[158:159] op_sel_hi:[1,0]
	s_waitcnt vmcnt(2)
	v_pk_mul_f32 v[156:157], v[164:165], v[20:21] op_sel:[1,0]
	v_pk_mul_f32 v[158:159], v[166:167], v[22:23] op_sel:[1,0]
	v_mov_b32_e32 v181, v75
	v_pk_add_f32 v[74:75], v[88:89], v[154:155]
	v_mov_b32_e32 v93, v97
	v_pk_fma_f32 v[96:97], v[94:95], v[46:47], v[70:71] op_sel:[0,0,1] op_sel_hi:[1,1,0] neg_lo:[0,0,1] neg_hi:[0,0,1]
	v_pk_fma_f32 v[70:71], v[94:95], v[46:47], v[70:71] op_sel:[0,0,1] op_sel_hi:[1,0,0]
	v_mov_b32_e32 v183, v99
	v_pk_fma_f32 v[94:95], v[84:85], v[50:51], v[152:153] op_sel:[0,0,1] op_sel_hi:[1,1,0] neg_lo:[0,0,1] neg_hi:[0,0,1]
	v_pk_fma_f32 v[84:85], v[84:85], v[50:51], v[152:153] op_sel:[0,0,1] op_sel_hi:[1,0,0]
	v_pk_fma_f32 v[98:99], v[166:167], v[20:21], v[156:157] op_sel:[0,0,1] op_sel_hi:[1,1,0] neg_lo:[0,0,1] neg_hi:[0,0,1]
	v_pk_fma_f32 v[152:153], v[166:167], v[20:21], v[156:157] op_sel:[0,0,1] op_sel_hi:[0,1,0]
	;; [unrolled: 2-line block ×3, first 2 shown]
	v_pk_add_f32 v[164:165], v[154:155], v[180:181]
	v_pk_add_f32 v[154:155], v[154:155], v[180:181] neg_lo:[0,1] neg_hi:[0,1]
	v_mov_b32_e32 v97, v71
	v_mov_b32_e32 v99, v153
	v_pk_fma_f32 v[88:89], v[164:165], 0.5, v[88:89] op_sel_hi:[1,0,1] neg_lo:[1,0,0] neg_hi:[1,0,0]
	v_pk_mul_f32 v[152:153], v[154:155], s[0:1] op_sel_hi:[1,0]
	v_mov_b32_e32 v157, v159
	v_pk_add_f32 v[154:155], v[92:93], v[96:97]
	v_pk_add_f32 v[166:167], v[88:89], v[152:153] op_sel:[0,1] op_sel_hi:[1,0]
	v_pk_add_f32 v[88:89], v[88:89], v[152:153] op_sel:[0,1] op_sel_hi:[1,0] neg_lo:[0,1] neg_hi:[0,1]
	v_pk_add_f32 v[70:71], v[90:91], v[92:93]
	v_mov_b32_e32 v95, v85
	v_pk_add_f32 v[92:93], v[92:93], v[96:97] neg_lo:[0,1] neg_hi:[0,1]
	v_pk_add_f32 v[158:159], v[68:69], v[98:99]
	v_pk_add_f32 v[164:165], v[98:99], v[156:157]
	v_pk_add_f32 v[98:99], v[98:99], v[156:157] neg_lo:[0,1] neg_hi:[0,1]
	v_pk_fma_f32 v[90:91], v[154:155], 0.5, v[90:91] op_sel_hi:[1,0,1] neg_lo:[1,0,0] neg_hi:[1,0,0]
	v_mov_b32_e32 v154, v166
	v_mov_b32_e32 v155, v89
	;; [unrolled: 1-line block ×3, first 2 shown]
	v_pk_add_f32 v[74:75], v[74:75], v[180:181]
	v_pk_add_f32 v[70:71], v[70:71], v[96:97]
	;; [unrolled: 1-line block ×3, first 2 shown]
	v_pk_mul_f32 v[92:93], v[92:93], s[0:1] op_sel_hi:[1,0]
	v_pk_fma_f32 v[152:153], v[164:165], 0.5, v[68:69] op_sel_hi:[1,0,1] neg_lo:[1,0,0] neg_hi:[1,0,0]
	v_pk_mul_f32 v[98:99], v[98:99], s[0:1] op_sel_hi:[1,0]
	ds_write_b64 v107, v[154:155] offset:1152
	ds_write_b64 v107, v[88:89] offset:2304
	ds_write2_b64 v107, v[74:75], v[70:71] offset1:27
	v_pk_add_f32 v[88:89], v[182:183], v[94:95] neg_lo:[0,1] neg_hi:[0,1]
	v_pk_add_f32 v[84:85], v[80:81], v[182:183]
	v_pk_add_f32 v[68:69], v[158:159], v[156:157]
	v_pk_add_f32 v[156:157], v[90:91], v[92:93] op_sel:[0,1] op_sel_hi:[1,0]
	v_pk_add_f32 v[90:91], v[90:91], v[92:93] op_sel:[0,1] op_sel_hi:[1,0] neg_lo:[0,1] neg_hi:[0,1]
	v_pk_add_f32 v[92:93], v[152:153], v[98:99] op_sel:[0,1] op_sel_hi:[1,0]
	v_pk_add_f32 v[152:153], v[152:153], v[98:99] op_sel:[0,1] op_sel_hi:[1,0] neg_lo:[0,1] neg_hi:[0,1]
	v_pk_fma_f32 v[80:81], v[96:97], 0.5, v[80:81] op_sel_hi:[1,0,1] neg_lo:[1,0,0] neg_hi:[1,0,0]
	v_pk_mul_f32 v[88:89], v[88:89], s[0:1] op_sel_hi:[1,0]
	v_mov_b32_e32 v70, v92
	v_mov_b32_e32 v71, v153
	;; [unrolled: 1-line block ×3, first 2 shown]
	v_pk_add_f32 v[92:93], v[80:81], v[88:89] op_sel:[0,1] op_sel_hi:[1,0]
	v_pk_add_f32 v[80:81], v[80:81], v[88:89] op_sel:[0,1] op_sel_hi:[1,0] neg_lo:[0,1] neg_hi:[0,1]
	v_mov_b32_e32 v74, v156
	v_mov_b32_e32 v75, v91
	;; [unrolled: 1-line block ×5, first 2 shown]
	ds_write2_b64 v107, v[74:75], v[88:89] offset0:171 offset1:198
	v_mov_b32_e32 v81, v93
	v_add_u32_e32 v74, 0x800, v107
	ds_write2_b64 v74, v[90:91], v[80:81] offset0:59 offset1:86
	s_waitcnt vmcnt(0) lgkmcnt(6)
	v_pk_mul_f32 v[80:81], v[76:77], v[64:65] op_sel:[0,1]
	v_pk_add_f32 v[84:85], v[84:85], v[94:95]
	v_pk_fma_f32 v[88:89], v[76:77], v[64:65], v[80:81] op_sel:[0,0,1] op_sel_hi:[1,1,0] neg_lo:[0,0,1] neg_hi:[0,0,1]
	v_pk_fma_f32 v[76:77], v[76:77], v[64:65], v[80:81] op_sel:[0,0,1] op_sel_hi:[1,0,0]
	v_add_u32_e32 v75, 0x600, v127
	v_mov_b32_e32 v76, v67
	v_mov_b32_e32 v89, v77
	v_pk_mul_f32 v[76:77], v[86:87], v[76:77] op_sel_hi:[1,0]
	s_nop 0
	v_pk_fma_f32 v[80:81], v[86:87], v[66:67], v[76:77] op_sel:[0,0,1] op_sel_hi:[1,1,0] neg_lo:[0,0,1] neg_hi:[0,0,1]
	v_pk_fma_f32 v[76:77], v[86:87], v[66:67], v[76:77] op_sel:[0,0,1] op_sel_hi:[1,0,0]
	s_nop 0
	v_mov_b32_e32 v81, v77
	v_pk_add_f32 v[76:77], v[82:83], v[88:89]
	s_nop 0
	v_pk_add_f32 v[76:77], v[76:77], v[80:81]
	ds_write2_b64 v107, v[84:85], v[76:77] offset0:54 offset1:81
	v_pk_add_f32 v[76:77], v[88:89], v[80:81]
	v_pk_add_f32 v[80:81], v[88:89], v[80:81] neg_lo:[0,1] neg_hi:[0,1]
	v_pk_fma_f32 v[76:77], v[76:77], 0.5, v[82:83] op_sel_hi:[1,0,1] neg_lo:[1,0,0] neg_hi:[1,0,0]
	v_pk_mul_f32 v[80:81], v[80:81], s[0:1] op_sel_hi:[1,0]
	s_nop 0
	v_pk_add_f32 v[82:83], v[76:77], v[80:81] op_sel:[0,1] op_sel_hi:[1,0]
	v_pk_add_f32 v[76:77], v[76:77], v[80:81] op_sel:[0,1] op_sel_hi:[1,0] neg_lo:[0,1] neg_hi:[0,1]
	v_mov_b32_e32 v80, v82
	v_mov_b32_e32 v81, v77
	;; [unrolled: 1-line block ×3, first 2 shown]
	ds_write_b64 v107, v[76:77] offset:2952
	v_pk_mul_f32 v[76:77], v[78:79], v[60:61] op_sel:[0,1]
	ds_write_b64 v107, v[80:81] offset:1800
	v_pk_fma_f32 v[80:81], v[78:79], v[60:61], v[76:77] op_sel:[0,0,1] op_sel_hi:[1,1,0] neg_lo:[0,0,1] neg_hi:[0,0,1]
	v_pk_fma_f32 v[76:77], v[78:79], v[60:61], v[76:77] op_sel:[0,0,1] op_sel_hi:[1,0,0]
	s_nop 0
	v_mov_b32_e32 v76, v63
	v_mov_b32_e32 v81, v77
	s_waitcnt lgkmcnt(8)
	v_pk_mul_f32 v[76:77], v[168:169], v[76:77] op_sel_hi:[1,0]
	s_nop 0
	v_pk_fma_f32 v[78:79], v[168:169], v[62:63], v[76:77] op_sel:[0,0,1] op_sel_hi:[1,1,0] neg_lo:[0,0,1] neg_hi:[0,0,1]
	v_pk_fma_f32 v[76:77], v[168:169], v[62:63], v[76:77] op_sel:[0,0,1] op_sel_hi:[1,0,0]
	s_nop 0
	v_mov_b32_e32 v79, v77
	v_pk_add_f32 v[76:77], v[72:73], v[80:81]
	s_nop 0
	v_pk_add_f32 v[76:77], v[76:77], v[78:79]
	ds_write_b64 v107, v[76:77] offset:864
	v_pk_add_f32 v[76:77], v[80:81], v[78:79]
	s_nop 0
	v_pk_fma_f32 v[72:73], v[76:77], 0.5, v[72:73] op_sel_hi:[1,0,1] neg_lo:[1,0,0] neg_hi:[1,0,0]
	v_pk_add_f32 v[76:77], v[80:81], v[78:79] neg_lo:[0,1] neg_hi:[0,1]
	s_nop 0
	v_pk_mul_f32 v[76:77], v[76:77], s[0:1] op_sel_hi:[1,0]
	s_nop 0
	v_pk_add_f32 v[78:79], v[72:73], v[76:77] op_sel:[0,1] op_sel_hi:[1,0]
	v_pk_add_f32 v[72:73], v[72:73], v[76:77] op_sel:[0,1] op_sel_hi:[1,0] neg_lo:[0,1] neg_hi:[0,1]
	v_mov_b32_e32 v76, v78
	v_mov_b32_e32 v77, v73
	;; [unrolled: 1-line block ×3, first 2 shown]
	ds_write2_b64 v75, v[76:77], v[72:73] offset0:60 offset1:204
	s_and_saveexec_b64 s[0:1], vcc
	s_cbranch_execz .LBB0_15
; %bb.14:
	v_add_u32_e32 v72, 0x400, v107
	ds_write2_b64 v72, v[68:69], v[70:71] offset0:7 offset1:151
	ds_write_b64 v107, v[152:153] offset:3384
.LBB0_15:
	s_or_b64 exec, exec, s[0:1]
	s_waitcnt lgkmcnt(0)
	; wave barrier
	s_waitcnt lgkmcnt(0)
	global_load_dwordx2 v[158:159], v[108:109], off offset:3456
	s_add_u32 s0, s12, 0xd80
	s_addc_u32 s1, s13, 0
	v_lshlrev_b32_e32 v72, 3, v126
	global_load_dwordx2 v[164:165], v72, s[0:1] offset:1152
	global_load_dwordx2 v[166:167], v72, s[0:1] offset:2304
	;; [unrolled: 1-line block ×14, first 2 shown]
	ds_read2_b64 v[76:79], v107 offset1:27
	ds_read2_b64 v[80:83], v107 offset0:108 offset1:144
	ds_read2_b64 v[84:87], v74 offset0:32 offset1:59
	;; [unrolled: 1-line block ×6, first 2 shown]
	s_waitcnt vmcnt(12) lgkmcnt(4)
	v_mul_f32_e32 v75, v85, v167
	s_waitcnt vmcnt(11)
	v_mul_f32_e32 v160, v79, v169
	s_waitcnt vmcnt(10) lgkmcnt(3)
	v_mul_f32_e32 v162, v89, v181
	s_waitcnt vmcnt(9)
	v_mul_f32_e32 v204, v87, v183
	;; [unrolled: 4-line block ×4, first 2 shown]
	v_mul_f32_e32 v73, v77, v159
	v_mul_f32_e32 v203, v76, v159
	v_fma_f32 v202, v76, v158, -v73
	v_fmac_f32_e32 v203, v77, v158
	v_mul_f32_e32 v73, v83, v165
	v_mul_f32_e32 v77, v82, v165
	;; [unrolled: 1-line block ×10, first 2 shown]
	s_waitcnt vmcnt(4) lgkmcnt(0)
	v_mul_f32_e32 v209, v155, v193
	v_mul_f32_e32 v189, v154, v193
	s_waitcnt vmcnt(3)
	v_mul_f32_e32 v210, v99, v195
	v_mul_f32_e32 v191, v98, v195
	s_waitcnt vmcnt(2)
	v_mul_f32_e32 v195, v81, v197
	v_mul_f32_e32 v193, v80, v197
	v_fma_f32 v76, v82, v164, -v73
	v_fmac_f32_e32 v77, v83, v164
	v_fma_f32 v164, v78, v168, -v160
	v_fmac_f32_e32 v165, v79, v168
	;; [unrolled: 2-line block ×12, first 2 shown]
	ds_write2_b64 v107, v[202:203], v[164:165] offset1:27
	ds_write2_b64 v74, v[158:159], v[168:169] offset0:32 offset1:59
	ds_write2_b64 v107, v[166:167], v[182:183] offset0:171 offset1:198
	;; [unrolled: 1-line block ×5, first 2 shown]
	ds_read_b64 v[74:75], v107 offset:3168
	s_waitcnt vmcnt(1)
	v_mul_f32_e32 v73, v157, v199
	v_mul_f32_e32 v77, v156, v199
	v_fma_f32 v76, v156, v198, -v73
	v_fmac_f32_e32 v77, v157, v198
	ds_write2_b64 v107, v[188:189], v[76:77] offset0:225 offset1:252
	s_waitcnt vmcnt(0) lgkmcnt(1)
	v_mul_f32_e32 v73, v75, v201
	v_mul_f32_e32 v77, v74, v201
	v_fma_f32 v76, v74, v200, -v73
	v_fmac_f32_e32 v77, v75, v200
	ds_write_b64 v107, v[76:77] offset:3168
	s_and_saveexec_b64 s[10:11], vcc
	s_cbranch_execz .LBB0_17
; %bb.16:
	v_mov_b32_e32 v73, 0
	v_lshl_add_u64 v[72:73], s[0:1], 0, v[72:73]
	global_load_dwordx2 v[76:77], v[72:73], off offset:1080
	global_load_dwordx2 v[78:79], v[72:73], off offset:2232
	;; [unrolled: 1-line block ×3, first 2 shown]
	v_add_u32_e32 v86, 0x400, v107
	ds_read2_b64 v[72:75], v86 offset0:7 offset1:151
	ds_read_b64 v[82:83], v107 offset:3384
	s_waitcnt vmcnt(2) lgkmcnt(1)
	v_mul_f32_e32 v84, v73, v77
	v_mul_f32_e32 v85, v72, v77
	s_waitcnt vmcnt(1)
	v_mul_f32_e32 v87, v75, v79
	v_mul_f32_e32 v77, v74, v79
	s_waitcnt vmcnt(0) lgkmcnt(0)
	v_mul_f32_e32 v88, v83, v81
	v_mul_f32_e32 v79, v82, v81
	v_fma_f32 v84, v72, v76, -v84
	v_fmac_f32_e32 v85, v73, v76
	v_fma_f32 v76, v74, v78, -v87
	v_fmac_f32_e32 v77, v75, v78
	;; [unrolled: 2-line block ×3, first 2 shown]
	ds_write2_b64 v86, v[84:85], v[76:77] offset0:7 offset1:151
	ds_write_b64 v107, v[78:79] offset:3384
.LBB0_17:
	s_or_b64 exec, exec, s[10:11]
	v_add_u32_e32 v76, 0x800, v107
	s_waitcnt lgkmcnt(0)
	; wave barrier
	s_waitcnt lgkmcnt(0)
	ds_read2_b64 v[92:95], v107 offset1:27
	ds_read2_b64 v[72:75], v107 offset0:108 offset1:144
	ds_read2_b64 v[96:99], v76 offset0:32 offset1:59
	;; [unrolled: 1-line block ×6, first 2 shown]
	ds_read_b64 v[158:159], v107 offset:3168
	s_and_saveexec_b64 s[0:1], vcc
	s_cbranch_execz .LBB0_19
; %bb.18:
	v_add_u32_e32 v68, 0x400, v107
	ds_read2_b64 v[68:71], v68 offset0:7 offset1:151
	ds_read_b64 v[152:153], v107 offset:3384
.LBB0_19:
	s_or_b64 exec, exec, s[0:1]
	s_waitcnt lgkmcnt(0)
	v_pk_add_f32 v[154:155], v[70:71], v[152:153]
	v_pk_add_f32 v[156:157], v[70:71], v[152:153] neg_lo:[0,1] neg_hi:[0,1]
	v_pk_fma_f32 v[184:185], v[154:155], 0.5, v[68:69] op_sel_hi:[1,0,1] neg_lo:[1,0,0] neg_hi:[1,0,0]
	s_mov_b32 s0, 0x3f5db3d7
	v_pk_add_f32 v[164:165], v[92:93], v[74:75]
	v_pk_fma_f32 v[154:155], v[156:157], s[0:1], v[184:185] op_sel:[0,0,1] op_sel_hi:[1,0,0]
	v_pk_fma_f32 v[156:157], v[156:157], s[0:1], v[184:185] op_sel:[0,0,1] op_sel_hi:[1,0,0] neg_lo:[1,0,0] neg_hi:[1,0,0]
	v_pk_add_f32 v[184:185], v[74:75], v[96:97]
	v_pk_add_f32 v[74:75], v[74:75], v[96:97] neg_lo:[0,1] neg_hi:[0,1]
	v_pk_fma_f32 v[92:93], v[184:185], 0.5, v[92:93] op_sel_hi:[1,0,1] neg_lo:[1,0,0] neg_hi:[1,0,0]
	v_pk_mul_f32 v[74:75], v[74:75], s[0:1] op_sel_hi:[1,0]
	v_pk_add_f32 v[164:165], v[164:165], v[96:97]
	v_pk_add_f32 v[96:97], v[92:93], v[74:75] op_sel:[0,1] op_sel_hi:[1,0] neg_lo:[0,1] neg_hi:[0,1]
	v_pk_add_f32 v[74:75], v[92:93], v[74:75] op_sel:[0,1] op_sel_hi:[1,0]
	v_mov_b32_e32 v92, v96
	v_mov_b32_e32 v93, v75
	v_pk_add_f32 v[166:167], v[94:95], v[88:89]
	s_waitcnt lgkmcnt(0)
	; wave barrier
	ds_write2_b64 v103, v[164:165], v[92:93] offset1:1
	v_pk_add_f32 v[92:93], v[88:89], v[98:99]
	v_pk_add_f32 v[88:89], v[88:89], v[98:99] neg_lo:[0,1] neg_hi:[0,1]
	v_pk_fma_f32 v[92:93], v[92:93], 0.5, v[94:95] op_sel_hi:[1,0,1] neg_lo:[1,0,0] neg_hi:[1,0,0]
	v_pk_mul_f32 v[88:89], v[88:89], s[0:1] op_sel_hi:[1,0]
	v_mov_b32_e32 v75, v97
	v_pk_add_f32 v[94:95], v[92:93], v[88:89] op_sel:[0,1] op_sel_hi:[1,0] neg_lo:[0,1] neg_hi:[0,1]
	v_pk_add_f32 v[88:89], v[92:93], v[88:89] op_sel:[0,1] op_sel_hi:[1,0]
	v_pk_add_f32 v[168:169], v[80:81], v[90:91]
	ds_write_b64 v103, v[74:75] offset:16
	v_pk_add_f32 v[74:75], v[166:167], v[98:99]
	v_mov_b32_e32 v92, v94
	v_mov_b32_e32 v93, v89
	v_mov_b32_e32 v89, v95
	ds_write2_b64 v161, v[74:75], v[92:93] offset1:1
	ds_write_b64 v161, v[88:89] offset:16
	v_pk_add_f32 v[74:75], v[168:169], v[84:85]
	v_pk_add_f32 v[88:89], v[90:91], v[84:85]
	v_pk_add_f32 v[84:85], v[90:91], v[84:85] neg_lo:[0,1] neg_hi:[0,1]
	v_pk_fma_f32 v[80:81], v[88:89], 0.5, v[80:81] op_sel_hi:[1,0,1] neg_lo:[1,0,0] neg_hi:[1,0,0]
	v_pk_mul_f32 v[84:85], v[84:85], s[0:1] op_sel_hi:[1,0]
	v_pk_add_f32 v[180:181], v[82:83], v[76:77]
	v_pk_add_f32 v[88:89], v[80:81], v[84:85] op_sel:[0,1] op_sel_hi:[1,0] neg_lo:[0,1] neg_hi:[0,1]
	v_pk_add_f32 v[80:81], v[80:81], v[84:85] op_sel:[0,1] op_sel_hi:[1,0]
	v_mov_b32_e32 v84, v88
	v_mov_b32_e32 v85, v81
	;; [unrolled: 1-line block ×3, first 2 shown]
	ds_write_b64 v171, v[80:81] offset:16
	v_pk_add_f32 v[80:81], v[76:77], v[86:87]
	v_pk_add_f32 v[76:77], v[76:77], v[86:87] neg_lo:[0,1] neg_hi:[0,1]
	v_pk_fma_f32 v[80:81], v[80:81], 0.5, v[82:83] op_sel_hi:[1,0,1] neg_lo:[1,0,0] neg_hi:[1,0,0]
	v_pk_mul_f32 v[76:77], v[76:77], s[0:1] op_sel_hi:[1,0]
	ds_write2_b64 v171, v[74:75], v[84:85] offset1:1
	v_pk_add_f32 v[82:83], v[80:81], v[76:77] op_sel:[0,1] op_sel_hi:[1,0] neg_lo:[0,1] neg_hi:[0,1]
	v_pk_add_f32 v[76:77], v[80:81], v[76:77] op_sel:[0,1] op_sel_hi:[1,0]
	v_pk_add_f32 v[182:183], v[72:73], v[78:79]
	v_mov_b32_e32 v81, v77
	v_mov_b32_e32 v77, v83
	ds_write_b64 v172, v[76:77] offset:16
	v_pk_add_f32 v[76:77], v[78:79], v[158:159]
	v_pk_add_f32 v[74:75], v[180:181], v[86:87]
	v_pk_fma_f32 v[72:73], v[76:77], 0.5, v[72:73] op_sel_hi:[1,0,1] neg_lo:[1,0,0] neg_hi:[1,0,0]
	v_pk_add_f32 v[76:77], v[78:79], v[158:159] neg_lo:[0,1] neg_hi:[0,1]
	v_mov_b32_e32 v80, v82
	v_pk_mul_f32 v[76:77], v[76:77], s[0:1] op_sel_hi:[1,0]
	ds_write2_b64 v172, v[74:75], v[80:81] offset1:1
	v_pk_add_f32 v[78:79], v[72:73], v[76:77] op_sel:[0,1] op_sel_hi:[1,0] neg_lo:[0,1] neg_hi:[0,1]
	v_pk_add_f32 v[72:73], v[72:73], v[76:77] op_sel:[0,1] op_sel_hi:[1,0]
	v_pk_add_f32 v[74:75], v[182:183], v[158:159]
	v_mov_b32_e32 v76, v78
	v_mov_b32_e32 v77, v73
	;; [unrolled: 1-line block ×3, first 2 shown]
	ds_write2_b64 v173, v[74:75], v[76:77] offset1:1
	ds_write_b64 v173, v[72:73] offset:16
	s_and_saveexec_b64 s[0:1], vcc
	s_cbranch_execz .LBB0_21
; %bb.20:
	v_pk_add_f32 v[68:69], v[68:69], v[70:71]
	v_lshl_add_u32 v72, v174, 3, v170
	v_pk_add_f32 v[68:69], v[68:69], v[152:153]
	v_mov_b32_e32 v70, v157
	v_mov_b32_e32 v71, v154
	ds_write2_b64 v72, v[68:69], v[70:71] offset1:1
	v_mov_b32_e32 v68, v155
	v_mov_b32_e32 v69, v156
	ds_write_b64 v72, v[68:69] offset:16
.LBB0_21:
	s_or_b64 exec, exec, s[0:1]
	s_waitcnt lgkmcnt(0)
	; wave barrier
	s_waitcnt lgkmcnt(0)
	ds_read2_b64 v[68:71], v107 offset1:27
	ds_read2_b64 v[72:75], v107 offset0:54 offset1:81
	ds_read2_b64 v[76:79], v107 offset0:108 offset1:135
	;; [unrolled: 1-line block ×4, first 2 shown]
	s_waitcnt lgkmcnt(4)
	v_pk_mul_f32 v[152:153], v[12:13], v[70:71] op_sel:[1,0]
	v_add_u32_e32 v103, 0x800, v107
	v_pk_fma_f32 v[158:159], v[12:13], v[70:71], v[152:153] op_sel:[0,0,1] op_sel_hi:[1,1,0]
	v_pk_fma_f32 v[12:13], v[12:13], v[70:71], v[152:153] op_sel:[0,0,1] op_sel_hi:[0,1,0] neg_lo:[0,0,1] neg_hi:[0,0,1]
	v_mov_b32_e32 v159, v13
	s_waitcnt lgkmcnt(3)
	v_pk_mul_f32 v[12:13], v[150:151], v[72:73] op_sel_hi:[0,1]
	v_pk_fma_f32 v[70:71], v[14:15], v[72:73], v[12:13] op_sel:[0,0,1] op_sel_hi:[1,1,0]
	v_pk_fma_f32 v[12:13], v[14:15], v[72:73], v[12:13] op_sel:[0,0,1] op_sel_hi:[0,1,0] neg_lo:[0,0,1] neg_hi:[0,0,1]
	v_mov_b32_e32 v12, v9
	v_mov_b32_e32 v71, v13
	v_pk_mul_f32 v[12:13], v[12:13], v[74:75] op_sel_hi:[0,1]
	v_pk_fma_f32 v[14:15], v[150:151], v[74:75], v[12:13] op_sel:[1,0,1] op_sel_hi:[1,1,0]
	v_pk_fma_f32 v[12:13], v[150:151], v[74:75], v[12:13] op_sel:[1,0,1] op_sel_hi:[1,1,0] neg_lo:[0,0,1] neg_hi:[0,0,1]
	ds_read2_b64 v[88:91], v103 offset0:14 offset1:41
	ds_read2_b64 v[92:95], v103 offset0:68 offset1:95
	;; [unrolled: 1-line block ×3, first 2 shown]
	v_mov_b32_e32 v15, v13
	s_waitcnt lgkmcnt(5)
	v_pk_mul_f32 v[12:13], v[10:11], v[76:77] op_sel:[1,0]
	s_mov_b32 s0, 0x3f3504f3
	v_pk_fma_f32 v[72:73], v[10:11], v[76:77], v[12:13] op_sel:[0,0,1] op_sel_hi:[1,1,0]
	v_pk_fma_f32 v[10:11], v[10:11], v[76:77], v[12:13] op_sel:[0,0,1] op_sel_hi:[0,1,0] neg_lo:[0,0,1] neg_hi:[0,0,1]
	v_mov_b32_e32 v73, v11
	v_pk_mul_f32 v[10:11], v[0:1], v[78:79] op_sel:[1,0]
	s_mov_b32 s10, 0x3f6c835e
	v_pk_fma_f32 v[12:13], v[0:1], v[78:79], v[10:11] op_sel:[0,0,1] op_sel_hi:[1,1,0]
	v_pk_fma_f32 v[0:1], v[0:1], v[78:79], v[10:11] op_sel:[0,0,1] op_sel_hi:[0,1,0] neg_lo:[0,0,1] neg_hi:[0,0,1]
	v_mov_b32_e32 v13, v1
	s_waitcnt lgkmcnt(4)
	v_pk_mul_f32 v[0:1], v[148:149], v[80:81] op_sel_hi:[0,1]
	v_pk_fma_f32 v[10:11], v[2:3], v[80:81], v[0:1] op_sel:[0,0,1] op_sel_hi:[1,1,0]
	v_pk_fma_f32 v[0:1], v[2:3], v[80:81], v[0:1] op_sel:[0,0,1] op_sel_hi:[0,1,0] neg_lo:[0,0,1] neg_hi:[0,0,1]
	v_mov_b32_e32 v0, v105
	v_mov_b32_e32 v11, v1
	v_pk_mul_f32 v[0:1], v[0:1], v[82:83] op_sel_hi:[0,1]
	v_pk_fma_f32 v[2:3], v[148:149], v[82:83], v[0:1] op_sel:[1,0,1] op_sel_hi:[1,1,0]
	v_pk_fma_f32 v[0:1], v[148:149], v[82:83], v[0:1] op_sel:[1,0,1] op_sel_hi:[1,1,0] neg_lo:[0,0,1] neg_hi:[0,0,1]
	s_mov_b32 s12, 0x3ec3ef15
	v_mov_b32_e32 v3, v1
	s_waitcnt lgkmcnt(3)
	v_pk_mul_f32 v[0:1], v[16:17], v[84:85] op_sel_hi:[0,1]
	v_pk_fma_f32 v[74:75], v[106:107], v[84:85], v[0:1] op_sel:[0,0,1] op_sel_hi:[1,1,0]
	v_pk_fma_f32 v[0:1], v[106:107], v[84:85], v[0:1] op_sel:[0,0,1] op_sel_hi:[0,1,0] neg_lo:[0,0,1] neg_hi:[0,0,1]
	v_mov_b32_e32 v75, v1
	v_pk_mul_f32 v[0:1], v[18:19], v[86:87] op_sel_hi:[0,1]
	v_pk_fma_f32 v[18:19], v[16:17], v[86:87], v[0:1] op_sel:[1,0,1] op_sel_hi:[1,1,0]
	v_pk_fma_f32 v[0:1], v[16:17], v[86:87], v[0:1] op_sel:[1,0,1] op_sel_hi:[1,1,0] neg_lo:[0,0,1] neg_hi:[0,0,1]
	s_waitcnt lgkmcnt(0)
	v_mov_b32_e32 v19, v1
	v_pk_mul_f32 v[0:1], v[4:5], v[88:89] op_sel_hi:[0,1]
	v_pk_fma_f32 v[16:17], v[104:105], v[88:89], v[0:1] op_sel:[0,0,1] op_sel_hi:[1,1,0]
	v_pk_fma_f32 v[0:1], v[104:105], v[88:89], v[0:1] op_sel:[0,0,1] op_sel_hi:[0,1,0] neg_lo:[0,0,1] neg_hi:[0,0,1]
	v_mov_b32_e32 v17, v1
	v_pk_mul_f32 v[0:1], v[6:7], v[90:91] op_sel_hi:[0,1]
	v_pk_fma_f32 v[6:7], v[4:5], v[90:91], v[0:1] op_sel:[1,0,1] op_sel_hi:[1,1,0]
	v_pk_fma_f32 v[0:1], v[4:5], v[90:91], v[0:1] op_sel:[1,0,1] op_sel_hi:[1,1,0] neg_lo:[0,0,1] neg_hi:[0,0,1]
	v_pk_add_f32 v[16:17], v[70:71], v[16:17] neg_lo:[0,1] neg_hi:[0,1]
	v_mov_b32_e32 v7, v1
	v_pk_mul_f32 v[0:1], v[146:147], v[92:93] op_sel:[1,0]
	v_pk_add_f32 v[18:19], v[158:159], v[18:19] neg_lo:[0,1] neg_hi:[0,1]
	v_pk_fma_f32 v[4:5], v[146:147], v[92:93], v[0:1] op_sel:[0,0,1] op_sel_hi:[1,1,0]
	v_pk_fma_f32 v[0:1], v[146:147], v[92:93], v[0:1] op_sel:[0,0,1] op_sel_hi:[0,1,0] neg_lo:[0,0,1] neg_hi:[0,0,1]
	v_mov_b32_e32 v5, v1
	v_pk_mul_f32 v[0:1], v[144:145], v[94:95] op_sel:[1,0]
	v_pk_add_f32 v[4:5], v[72:73], v[4:5] neg_lo:[0,1] neg_hi:[0,1]
	v_pk_fma_f32 v[76:77], v[144:145], v[94:95], v[0:1] op_sel:[0,0,1] op_sel_hi:[1,1,0]
	v_pk_fma_f32 v[0:1], v[144:145], v[94:95], v[0:1] op_sel:[0,0,1] op_sel_hi:[0,1,0] neg_lo:[0,0,1] neg_hi:[0,0,1]
	v_mov_b32_e32 v77, v1
	v_pk_mul_f32 v[0:1], v[100:101], v[96:97] op_sel_hi:[0,1]
	v_pk_fma_f32 v[78:79], v[8:9], v[96:97], v[0:1] op_sel:[0,0,1] op_sel_hi:[1,1,0]
	v_pk_fma_f32 v[0:1], v[8:9], v[96:97], v[0:1] op_sel:[0,0,1] op_sel_hi:[0,1,0] neg_lo:[0,0,1] neg_hi:[0,0,1]
	v_mov_b32_e32 v0, v102
	v_mov_b32_e32 v79, v1
	v_pk_mul_f32 v[0:1], v[0:1], v[98:99] op_sel_hi:[0,1]
	v_pk_fma_f32 v[8:9], v[100:101], v[98:99], v[0:1] op_sel:[1,0,1] op_sel_hi:[1,1,0]
	v_pk_fma_f32 v[0:1], v[100:101], v[98:99], v[0:1] op_sel:[1,0,1] op_sel_hi:[1,1,0] neg_lo:[0,0,1] neg_hi:[0,0,1]
	v_pk_add_f32 v[76:77], v[12:13], v[76:77] neg_lo:[0,1] neg_hi:[0,1]
	v_mov_b32_e32 v9, v1
	v_pk_add_f32 v[0:1], v[68:69], v[74:75] neg_lo:[0,1] neg_hi:[0,1]
	v_pk_add_f32 v[74:75], v[10:11], v[78:79] neg_lo:[0,1] neg_hi:[0,1]
	;; [unrolled: 1-line block ×4, first 2 shown]
	v_pk_fma_f32 v[68:69], v[68:69], 2.0, v[0:1] op_sel_hi:[1,0,1] neg_lo:[0,0,1] neg_hi:[0,0,1]
	v_pk_fma_f32 v[72:73], v[72:73], 2.0, v[4:5] op_sel_hi:[1,0,1] neg_lo:[0,0,1] neg_hi:[0,0,1]
	;; [unrolled: 1-line block ×8, first 2 shown]
	v_pk_add_f32 v[80:81], v[68:69], v[72:73] neg_lo:[0,1] neg_hi:[0,1]
	v_pk_add_f32 v[10:11], v[70:71], v[10:11] neg_lo:[0,1] neg_hi:[0,1]
	;; [unrolled: 1-line block ×4, first 2 shown]
	v_pk_fma_f32 v[68:69], v[68:69], 2.0, v[80:81] op_sel_hi:[1,0,1] neg_lo:[0,0,1] neg_hi:[0,0,1]
	v_pk_fma_f32 v[70:71], v[70:71], 2.0, v[10:11] op_sel_hi:[1,0,1] neg_lo:[0,0,1] neg_hi:[0,0,1]
	;; [unrolled: 1-line block ×4, first 2 shown]
	v_pk_add_f32 v[70:71], v[68:69], v[70:71] neg_lo:[0,1] neg_hi:[0,1]
	v_pk_add_f32 v[14:15], v[72:73], v[14:15] neg_lo:[0,1] neg_hi:[0,1]
	v_pk_fma_f32 v[68:69], v[68:69], 2.0, v[70:71] op_sel_hi:[1,0,1] neg_lo:[0,0,1] neg_hi:[0,0,1]
	v_pk_fma_f32 v[72:73], v[72:73], 2.0, v[14:15] op_sel_hi:[1,0,1] neg_lo:[0,0,1] neg_hi:[0,0,1]
	v_pk_add_f32 v[82:83], v[16:17], v[74:75] op_sel:[0,1] op_sel_hi:[1,0]
	v_pk_add_f32 v[78:79], v[68:69], v[72:73] neg_lo:[0,1] neg_hi:[0,1]
	v_pk_add_f32 v[72:73], v[0:1], v[4:5] op_sel:[0,1] op_sel_hi:[1,0]
	v_pk_add_f32 v[4:5], v[0:1], v[4:5] op_sel:[0,1] op_sel_hi:[1,0] neg_lo:[0,1] neg_hi:[0,1]
	v_pk_add_f32 v[74:75], v[16:17], v[74:75] op_sel:[0,1] op_sel_hi:[1,0] neg_lo:[0,1] neg_hi:[0,1]
	v_mov_b32_e32 v73, v5
	v_mov_b32_e32 v83, v75
	v_pk_add_f32 v[74:75], v[18:19], v[76:77] op_sel:[0,1] op_sel_hi:[1,0]
	v_pk_add_f32 v[76:77], v[18:19], v[76:77] op_sel:[0,1] op_sel_hi:[1,0] neg_lo:[0,1] neg_hi:[0,1]
	v_pk_add_f32 v[84:85], v[6:7], v[8:9] op_sel:[0,1] op_sel_hi:[1,0]
	v_pk_add_f32 v[8:9], v[6:7], v[8:9] op_sel:[0,1] op_sel_hi:[1,0] neg_lo:[0,1] neg_hi:[0,1]
	v_pk_fma_f32 v[0:1], v[0:1], 2.0, v[72:73] op_sel_hi:[1,0,1] neg_lo:[0,0,1] neg_hi:[0,0,1]
	v_pk_fma_f32 v[16:17], v[16:17], 2.0, v[82:83] op_sel_hi:[1,0,1] neg_lo:[0,0,1] neg_hi:[0,0,1]
	v_mov_b32_e32 v75, v77
	v_mov_b32_e32 v85, v9
	v_pk_fma_f32 v[18:19], v[18:19], 2.0, v[74:75] op_sel_hi:[1,0,1] neg_lo:[0,0,1] neg_hi:[0,0,1]
	v_pk_fma_f32 v[6:7], v[6:7], 2.0, v[84:85] op_sel_hi:[1,0,1] neg_lo:[0,0,1] neg_hi:[0,0,1]
	v_pk_mul_f32 v[8:9], v[16:17], s[0:1] op_sel_hi:[1,0]
	v_pk_fma_f32 v[16:17], v[16:17], s[0:1], v[0:1] op_sel_hi:[1,0,1] neg_lo:[1,0,0] neg_hi:[1,0,0]
	v_pk_fma_f32 v[68:69], v[68:69], 2.0, v[78:79] op_sel_hi:[1,0,1] neg_lo:[0,0,1] neg_hi:[0,0,1]
	v_pk_add_f32 v[86:87], v[16:17], v[8:9] op_sel:[0,1] op_sel_hi:[1,0]
	v_pk_add_f32 v[8:9], v[16:17], v[8:9] op_sel:[0,1] op_sel_hi:[1,0] neg_lo:[0,1] neg_hi:[0,1]
	v_pk_mul_f32 v[16:17], v[6:7], s[0:1] op_sel_hi:[1,0]
	v_pk_fma_f32 v[6:7], v[6:7], s[0:1], v[18:19] op_sel_hi:[1,0,1] neg_lo:[1,0,0] neg_hi:[1,0,0]
	v_mov_b32_e32 v87, v9
	v_pk_add_f32 v[88:89], v[6:7], v[16:17] op_sel:[0,1] op_sel_hi:[1,0]
	v_pk_add_f32 v[6:7], v[6:7], v[16:17] op_sel:[0,1] op_sel_hi:[1,0] neg_lo:[0,1] neg_hi:[0,1]
	v_pk_fma_f32 v[0:1], v[0:1], 2.0, v[86:87] op_sel_hi:[1,0,1] neg_lo:[0,0,1] neg_hi:[0,0,1]
	v_mov_b32_e32 v89, v7
	v_pk_fma_f32 v[16:17], v[18:19], 2.0, v[88:89] op_sel_hi:[1,0,1] neg_lo:[0,0,1] neg_hi:[0,0,1]
	; wave barrier
	s_nop 0
	v_pk_fma_f32 v[18:19], v[16:17], s[10:11], v[0:1] op_sel_hi:[1,0,1] neg_lo:[1,0,0] neg_hi:[1,0,0]
	v_pk_mul_f32 v[16:17], v[16:17], s[12:13] op_sel_hi:[1,0]
	s_nop 0
	v_pk_add_f32 v[90:91], v[18:19], v[16:17] op_sel:[0,1] op_sel_hi:[1,0]
	v_pk_add_f32 v[16:17], v[18:19], v[16:17] op_sel:[0,1] op_sel_hi:[1,0] neg_lo:[0,1] neg_hi:[0,1]
	v_pk_fma_f32 v[18:19], v[82:83], s[0:1], v[72:73] op_sel_hi:[1,0,1]
	v_mov_b32_e32 v91, v17
	v_fmamk_f32 v17, v7, 0x3ec3ef15, v9
	v_fmamk_f32 v16, v88, 0x3ec3ef15, v86
	v_fmac_f32_e32 v17, 0xbf6c835e, v88
	v_fmac_f32_e32 v16, 0x3f6c835e, v7
	v_fma_f32 v7, v9, 2.0, -v17
	v_pk_mul_f32 v[8:9], v[82:83], s[0:1] op_sel_hi:[1,0]
	v_pk_fma_f32 v[0:1], v[0:1], 2.0, v[90:91] op_sel_hi:[1,0,1] neg_lo:[0,0,1] neg_hi:[0,0,1]
	v_pk_add_f32 v[82:83], v[18:19], v[8:9] op_sel:[0,1] op_sel_hi:[1,0]
	v_pk_add_f32 v[8:9], v[18:19], v[8:9] op_sel:[0,1] op_sel_hi:[1,0] neg_lo:[0,1] neg_hi:[0,1]
	v_fma_f32 v72, v72, 2.0, -v82
	v_mov_b32_e32 v83, v9
	v_fma_f32 v73, v5, 2.0, -v9
	v_pk_mul_f32 v[4:5], v[84:85], s[0:1] op_sel_hi:[1,0]
	v_pk_fma_f32 v[8:9], v[84:85], s[0:1], v[74:75] op_sel_hi:[1,0,1]
	ds_write2_b64 v175, v[68:69], v[0:1] offset1:3
	v_pk_add_f32 v[18:19], v[8:9], v[4:5] op_sel:[0,1] op_sel_hi:[1,0]
	v_pk_add_f32 v[4:5], v[8:9], v[4:5] op_sel:[0,1] op_sel_hi:[1,0] neg_lo:[0,1] neg_hi:[0,1]
	v_fma_f32 v8, v74, 2.0, -v18
	v_fma_f32 v9, v77, 2.0, -v5
	v_mov_b32_e32 v19, v5
	v_fmamk_f32 v4, v8, 0xbec3ef15, v72
	v_fmamk_f32 v5, v9, 0xbec3ef15, v73
	v_fmac_f32_e32 v4, 0x3f6c835e, v9
	v_fmac_f32_e32 v5, 0xbf6c835e, v8
	v_pk_fma_f32 v[74:75], v[18:19], s[10:11], v[82:83] op_sel_hi:[1,0,1]
	v_pk_mul_f32 v[18:19], v[18:19], s[12:13] op_sel_hi:[1,0]
	v_fma_f32 v8, v72, 2.0, -v4
	v_fma_f32 v9, v73, 2.0, -v5
	v_pk_add_f32 v[72:73], v[74:75], v[18:19] op_sel:[0,1] op_sel_hi:[1,0]
	v_pk_add_f32 v[18:19], v[74:75], v[18:19] op_sel:[0,1] op_sel_hi:[1,0] neg_lo:[0,1] neg_hi:[0,1]
	v_pk_add_f32 v[0:1], v[80:81], v[10:11] op_sel:[0,1] op_sel_hi:[1,0]
	v_mov_b32_e32 v73, v19
	v_pk_add_f32 v[10:11], v[80:81], v[10:11] op_sel:[0,1] op_sel_hi:[1,0] neg_lo:[0,1] neg_hi:[0,1]
	v_pk_add_f32 v[18:19], v[12:13], v[2:3] op_sel:[0,1] op_sel_hi:[1,0]
	v_pk_add_f32 v[2:3], v[12:13], v[2:3] op_sel:[0,1] op_sel_hi:[1,0] neg_lo:[0,1] neg_hi:[0,1]
	v_mov_b32_e32 v1, v11
	v_mov_b32_e32 v19, v3
	v_pk_fma_f32 v[10:11], v[80:81], 2.0, v[0:1] op_sel_hi:[1,0,1] neg_lo:[0,0,1] neg_hi:[0,0,1]
	v_pk_fma_f32 v[2:3], v[12:13], 2.0, v[18:19] op_sel_hi:[1,0,1] neg_lo:[0,0,1] neg_hi:[0,0,1]
	v_fma_f32 v6, v86, 2.0, -v16
	v_pk_mul_f32 v[12:13], v[2:3], s[0:1] op_sel_hi:[1,0]
	v_pk_fma_f32 v[2:3], v[2:3], s[0:1], v[10:11] op_sel_hi:[1,0,1] neg_lo:[1,0,0] neg_hi:[1,0,0]
	s_nop 0
	v_pk_add_f32 v[68:69], v[2:3], v[12:13] op_sel:[0,1] op_sel_hi:[1,0]
	v_pk_add_f32 v[2:3], v[2:3], v[12:13] op_sel:[0,1] op_sel_hi:[1,0] neg_lo:[0,1] neg_hi:[0,1]
	s_nop 0
	v_mov_b32_e32 v69, v3
	v_pk_fma_f32 v[2:3], v[10:11], 2.0, v[68:69] op_sel_hi:[1,0,1] neg_lo:[0,0,1] neg_hi:[0,0,1]
	ds_write2_b64 v175, v[2:3], v[8:9] offset0:6 offset1:9
	v_pk_add_f32 v[2:3], v[70:71], v[14:15] op_sel:[0,1] op_sel_hi:[1,0]
	v_pk_add_f32 v[8:9], v[70:71], v[14:15] op_sel:[0,1] op_sel_hi:[1,0] neg_lo:[0,1] neg_hi:[0,1]
	s_nop 0
	v_mov_b32_e32 v3, v9
	v_pk_fma_f32 v[8:9], v[70:71], 2.0, v[2:3] op_sel_hi:[1,0,1] neg_lo:[0,0,1] neg_hi:[0,0,1]
	ds_write2_b64 v175, v[8:9], v[6:7] offset0:12 offset1:15
	v_pk_mul_f32 v[6:7], v[18:19], s[0:1] op_sel_hi:[1,0]
	v_pk_fma_f32 v[8:9], v[18:19], s[0:1], v[0:1] op_sel_hi:[1,0,1]
	s_nop 0
	v_pk_add_f32 v[10:11], v[8:9], v[6:7] op_sel:[0,1] op_sel_hi:[1,0]
	v_pk_add_f32 v[6:7], v[8:9], v[6:7] op_sel:[0,1] op_sel_hi:[1,0] neg_lo:[0,1] neg_hi:[0,1]
	s_nop 0
	v_mov_b32_e32 v11, v7
	v_pk_fma_f32 v[0:1], v[0:1], 2.0, v[10:11] op_sel_hi:[1,0,1] neg_lo:[0,0,1] neg_hi:[0,0,1]
	v_pk_fma_f32 v[6:7], v[82:83], 2.0, v[72:73] op_sel_hi:[1,0,1] neg_lo:[0,0,1] neg_hi:[0,0,1]
	ds_write2_b64 v175, v[0:1], v[6:7] offset0:18 offset1:21
	ds_write2_b64 v175, v[78:79], v[90:91] offset0:24 offset1:27
	;; [unrolled: 1-line block ×5, first 2 shown]
	s_waitcnt lgkmcnt(0)
	; wave barrier
	s_waitcnt lgkmcnt(0)
	ds_read2_b64 v[76:79], v107 offset1:27
	ds_read2_b64 v[4:7], v107 offset0:108 offset1:144
	ds_read2_b64 v[80:83], v103 offset0:32 offset1:59
	;; [unrolled: 1-line block ×6, first 2 shown]
	ds_read_b64 v[84:85], v107 offset:3168
	s_and_saveexec_b64 s[0:1], s[2:3]
	s_xor_b64 s[0:1], exec, s[0:1]
	s_or_saveexec_b64 s[0:1], s[0:1]
	v_mov_b32_e32 v104, v24
	v_mov_b32_e32 v105, v24
	;; [unrolled: 1-line block ×30, first 2 shown]
	s_xor_b64 exec, exec, s[0:1]
	s_cbranch_execz .LBB0_23
; %bb.22:
	v_add_u32_e32 v2, 0x400, v107
	ds_read_b64 v[0:1], v107 offset:3384
	ds_read2_b64 v[72:75], v2 offset0:7 offset1:151
	s_waitcnt lgkmcnt(1)
	v_mov_b32_e32 v155, v0
	v_mov_b32_e32 v156, v1
	s_waitcnt lgkmcnt(0)
	v_mov_b32_e32 v154, v75
	v_mov_b32_e32 v157, v74
.LBB0_23:
	s_or_b64 exec, exec, s[0:1]
	v_pk_mul_f32 v[0:1], v[32:33], v[154:155] op_sel_hi:[1,0]
	s_waitcnt lgkmcnt(4)
	v_pk_mul_f32 v[74:75], v[40:41], v[70:71]
	v_pk_mul_f32 v[2:3], v[34:35], v[156:157] op_sel_hi:[1,0]
	v_pk_fma_f32 v[40:41], v[32:33], v[156:157], v[0:1] op_sel:[0,1,1] op_sel_hi:[1,1,0]
	v_pk_fma_f32 v[0:1], v[32:33], v[156:157], v[0:1] op_sel:[0,1,1] op_sel_hi:[1,1,0] neg_lo:[1,0,0] neg_hi:[1,0,0]
	v_pk_fma_f32 v[32:33], v[34:35], v[154:155], v[2:3] op_sel:[0,1,1] op_sel_hi:[1,1,0]
	v_mov_b32_e32 v41, v1
	v_pk_fma_f32 v[0:1], v[34:35], v[154:155], v[2:3] op_sel:[0,1,1] op_sel_hi:[1,1,0] neg_lo:[1,0,0] neg_hi:[1,0,0]
	s_mov_b32 s0, 0x3f5db3d7
	v_mov_b32_e32 v33, v1
	v_pk_add_f32 v[0:1], v[72:73], v[40:41]
	v_pk_add_f32 v[2:3], v[40:41], v[32:33]
	;; [unrolled: 1-line block ×3, first 2 shown]
	v_pk_add_f32 v[32:33], v[40:41], v[32:33] neg_lo:[0,1] neg_hi:[0,1]
	v_pk_mul_f32 v[24:25], v[24:25], v[6:7]
	v_pk_fma_f32 v[2:3], v[2:3], 0.5, v[72:73] op_sel_hi:[1,0,1] neg_lo:[1,0,0] neg_hi:[1,0,0]
	v_pk_mul_f32 v[32:33], v[32:33], s[0:1] op_sel_hi:[1,0]
	v_pk_mul_f32 v[26:27], v[26:27], v[80:81]
	v_pk_add_f32 v[40:41], v[32:33], v[2:3] op_sel:[1,0] op_sel_hi:[0,1]
	v_pk_add_f32 v[2:3], v[2:3], v[32:33] op_sel:[0,1] op_sel_hi:[1,0] neg_lo:[0,1] neg_hi:[0,1]
	v_pk_fma_f32 v[32:33], v[104:105], v[6:7], v[24:25] op_sel:[0,0,1] op_sel_hi:[1,1,0]
	v_pk_fma_f32 v[6:7], v[104:105], v[6:7], v[24:25] op_sel:[0,0,1] op_sel_hi:[1,1,0] neg_lo:[0,0,1] neg_hi:[0,0,1]
	v_pk_fma_f32 v[24:25], v[102:103], v[80:81], v[26:27] op_sel:[0,0,1] op_sel_hi:[1,1,0] neg_lo:[0,0,1] neg_hi:[0,0,1]
	v_mov_b32_e32 v33, v7
	v_pk_fma_f32 v[6:7], v[102:103], v[80:81], v[26:27] op_sel:[0,0,1] op_sel_hi:[1,1,0]
	v_pk_mul_f32 v[28:29], v[28:29], v[68:69]
	v_mov_b32_e32 v7, v25
	v_pk_add_f32 v[24:25], v[76:77], v[32:33]
	v_pk_add_f32 v[26:27], v[32:33], v[6:7]
	;; [unrolled: 1-line block ×3, first 2 shown]
	v_pk_add_f32 v[6:7], v[32:33], v[6:7] neg_lo:[0,1] neg_hi:[0,1]
	v_pk_fma_f32 v[26:27], v[26:27], 0.5, v[76:77] op_sel_hi:[1,0,1] neg_lo:[1,0,0] neg_hi:[1,0,0]
	v_pk_mul_f32 v[6:7], v[6:7], s[0:1] op_sel_hi:[1,0]
	v_pk_mul_f32 v[30:31], v[30:31], v[82:83]
	v_pk_add_f32 v[32:33], v[26:27], v[6:7] op_sel:[0,1] op_sel_hi:[1,0]
	v_pk_add_f32 v[6:7], v[26:27], v[6:7] op_sel:[0,1] op_sel_hi:[1,0] neg_lo:[0,1] neg_hi:[0,1]
	v_mov_b32_e32 v27, v33
	v_mov_b32_e32 v26, v6
	s_waitcnt lgkmcnt(0)
	; wave barrier
	s_waitcnt lgkmcnt(0)
	ds_write2_b64 v107, v[24:25], v[26:27] offset1:48
	v_mov_b32_e32 v33, v7
	v_pk_fma_f32 v[6:7], v[100:101], v[68:69], v[28:29] op_sel:[0,0,1] op_sel_hi:[1,1,0]
	v_pk_fma_f32 v[24:25], v[100:101], v[68:69], v[28:29] op_sel:[0,0,1] op_sel_hi:[1,1,0] neg_lo:[0,0,1] neg_hi:[0,0,1]
	v_pk_fma_f32 v[26:27], v[98:99], v[82:83], v[30:31] op_sel:[0,0,1] op_sel_hi:[1,1,0] neg_lo:[0,0,1] neg_hi:[0,0,1]
	v_mov_b32_e32 v7, v25
	v_pk_fma_f32 v[24:25], v[98:99], v[82:83], v[30:31] op_sel:[0,0,1] op_sel_hi:[1,1,0]
	v_pk_mul_f32 v[42:43], v[42:43], v[16:17]
	v_mov_b32_e32 v25, v27
	v_pk_add_f32 v[26:27], v[78:79], v[6:7]
	v_pk_add_f32 v[28:29], v[6:7], v[24:25]
	v_pk_add_f32 v[6:7], v[6:7], v[24:25] neg_lo:[0,1] neg_hi:[0,1]
	v_pk_fma_f32 v[28:29], v[28:29], 0.5, v[78:79] op_sel_hi:[1,0,1] neg_lo:[1,0,0] neg_hi:[1,0,0]
	v_pk_mul_f32 v[6:7], v[6:7], s[0:1] op_sel_hi:[1,0]
	v_pk_add_f32 v[26:27], v[26:27], v[24:25]
	v_pk_add_f32 v[24:25], v[28:29], v[6:7] op_sel:[0,1] op_sel_hi:[1,0] neg_lo:[0,1] neg_hi:[0,1]
	v_pk_add_f32 v[6:7], v[28:29], v[6:7] op_sel:[0,1] op_sel_hi:[1,0]
	ds_write_b64 v107, v[32:33] offset:768
	v_mov_b32_e32 v29, v7
	v_mov_b32_e32 v7, v25
	;; [unrolled: 1-line block ×3, first 2 shown]
	ds_write_b64 v176, v[6:7] offset:768
	v_pk_fma_f32 v[6:7], v[96:97], v[70:71], v[74:75] op_sel:[0,0,1] op_sel_hi:[1,1,0]
	v_pk_fma_f32 v[24:25], v[96:97], v[70:71], v[74:75] op_sel:[0,0,1] op_sel_hi:[1,1,0] neg_lo:[0,0,1] neg_hi:[0,0,1]
	ds_write2_b64 v176, v[26:27], v[28:29] offset1:48
	v_mov_b32_e32 v7, v25
	v_pk_fma_f32 v[24:25], v[94:95], v[16:17], v[42:43] op_sel:[0,0,1] op_sel_hi:[1,1,0]
	v_pk_fma_f32 v[16:17], v[94:95], v[16:17], v[42:43] op_sel:[0,0,1] op_sel_hi:[1,1,0] neg_lo:[0,0,1] neg_hi:[0,0,1]
	v_pk_mul_f32 v[56:57], v[56:57], v[8:9]
	v_mov_b32_e32 v25, v17
	v_pk_add_f32 v[16:17], v[6:7], v[24:25]
	v_pk_add_f32 v[26:27], v[6:7], v[24:25] neg_lo:[0,1] neg_hi:[0,1]
	v_pk_fma_f32 v[16:17], v[16:17], 0.5, v[12:13] op_sel_hi:[1,0,1] neg_lo:[1,0,0] neg_hi:[1,0,0]
	v_pk_mul_f32 v[26:27], v[26:27], s[0:1] op_sel_hi:[1,0]
	v_pk_add_f32 v[6:7], v[12:13], v[6:7]
	v_pk_add_f32 v[28:29], v[16:17], v[26:27] op_sel:[0,1] op_sel_hi:[1,0]
	v_pk_add_f32 v[16:17], v[16:17], v[26:27] op_sel:[0,1] op_sel_hi:[1,0] neg_lo:[0,1] neg_hi:[0,1]
	v_pk_add_f32 v[6:7], v[6:7], v[24:25]
	ds_write_b64 v107, v[6:7] offset:1200
	v_mov_b32_e32 v6, v16
	v_mov_b32_e32 v7, v29
	v_pk_mul_f32 v[58:59], v[58:59], v[18:19]
	ds_write_b64 v177, v[6:7] offset:1536
	v_pk_fma_f32 v[6:7], v[92:93], v[8:9], v[56:57] op_sel:[0,0,1] op_sel_hi:[1,1,0]
	v_pk_fma_f32 v[8:9], v[92:93], v[8:9], v[56:57] op_sel:[0,0,1] op_sel_hi:[1,1,0] neg_lo:[0,0,1] neg_hi:[0,0,1]
	v_pk_fma_f32 v[12:13], v[90:91], v[18:19], v[58:59] op_sel:[0,0,1] op_sel_hi:[1,1,0] neg_lo:[0,0,1] neg_hi:[0,0,1]
	v_mov_b32_e32 v7, v9
	v_pk_fma_f32 v[8:9], v[90:91], v[18:19], v[58:59] op_sel:[0,0,1] op_sel_hi:[1,1,0]
	v_mov_b32_e32 v29, v17
	v_mov_b32_e32 v9, v13
	v_pk_add_f32 v[12:13], v[14:15], v[6:7]
	v_pk_add_f32 v[16:17], v[6:7], v[8:9]
	v_pk_add_f32 v[6:7], v[6:7], v[8:9] neg_lo:[0,1] neg_hi:[0,1]
	v_pk_fma_f32 v[14:15], v[16:17], 0.5, v[14:15] op_sel_hi:[1,0,1] neg_lo:[1,0,0] neg_hi:[1,0,0]
	v_pk_mul_f32 v[6:7], v[6:7], s[0:1] op_sel_hi:[1,0]
	v_pk_add_f32 v[12:13], v[12:13], v[8:9]
	v_pk_add_f32 v[8:9], v[14:15], v[6:7] op_sel:[0,1] op_sel_hi:[1,0] neg_lo:[0,1] neg_hi:[0,1]
	v_pk_add_f32 v[6:7], v[14:15], v[6:7] op_sel:[0,1] op_sel_hi:[1,0]
	v_pk_mul_f32 v[52:53], v[52:53], v[10:11]
	v_mov_b32_e32 v15, v7
	v_mov_b32_e32 v7, v9
	v_pk_mul_f32 v[54:55], v[54:55], v[84:85]
	ds_write_b64 v107, v[28:29] offset:1968
	v_mov_b32_e32 v14, v8
	ds_write_b64 v178, v[6:7] offset:768
	v_pk_fma_f32 v[6:7], v[88:89], v[10:11], v[52:53] op_sel:[0,0,1] op_sel_hi:[1,1,0]
	v_pk_fma_f32 v[8:9], v[88:89], v[10:11], v[52:53] op_sel:[0,0,1] op_sel_hi:[1,1,0] neg_lo:[0,0,1] neg_hi:[0,0,1]
	v_pk_fma_f32 v[10:11], v[86:87], v[84:85], v[54:55] op_sel:[0,0,1] op_sel_hi:[1,1,0] neg_lo:[0,0,1] neg_hi:[0,0,1]
	v_mov_b32_e32 v7, v9
	v_pk_fma_f32 v[8:9], v[86:87], v[84:85], v[54:55] op_sel:[0,0,1] op_sel_hi:[1,1,0]
	ds_write2_b64 v178, v[12:13], v[14:15] offset1:48
	v_mov_b32_e32 v9, v11
	v_pk_add_f32 v[10:11], v[4:5], v[6:7]
	v_pk_add_f32 v[12:13], v[6:7], v[8:9]
	v_pk_add_f32 v[6:7], v[6:7], v[8:9] neg_lo:[0,1] neg_hi:[0,1]
	v_pk_fma_f32 v[4:5], v[12:13], 0.5, v[4:5] op_sel_hi:[1,0,1] neg_lo:[1,0,0] neg_hi:[1,0,0]
	v_pk_mul_f32 v[6:7], v[6:7], s[0:1] op_sel_hi:[1,0]
	v_pk_add_f32 v[10:11], v[10:11], v[8:9]
	v_pk_add_f32 v[8:9], v[4:5], v[6:7] op_sel:[0,1] op_sel_hi:[1,0] neg_lo:[0,1] neg_hi:[0,1]
	v_pk_add_f32 v[4:5], v[4:5], v[6:7] op_sel:[0,1] op_sel_hi:[1,0]
	v_mov_b32_e32 v6, v8
	v_mov_b32_e32 v7, v5
	v_add_u32_e32 v5, 0x800, v179
	ds_write2_b64 v5, v[10:11], v[6:7] offset0:32 offset1:80
	v_mov_b32_e32 v5, v9
	ds_write_b64 v179, v[4:5] offset:3072
	s_and_saveexec_b64 s[0:1], vcc
	s_cbranch_execz .LBB0_25
; %bb.24:
	v_and_b32_e32 v4, 0xff, v163
	v_lshl_add_u32 v6, v4, 3, v170
	v_mov_b32_e32 v4, v2
	v_mov_b32_e32 v5, v41
	v_add_u32_e32 v7, 0x800, v6
	ds_write2_b64 v7, v[0:1], v[4:5] offset0:32 offset1:80
	v_mov_b32_e32 v4, v40
	v_mov_b32_e32 v5, v3
	ds_write_b64 v6, v[4:5] offset:3072
.LBB0_25:
	s_or_b64 exec, exec, s[0:1]
	v_add_u32_e32 v8, 0x800, v107
	s_waitcnt lgkmcnt(0)
	; wave barrier
	s_waitcnt lgkmcnt(0)
	ds_read2_b64 v[28:31], v107 offset1:27
	ds_read2_b64 v[4:7], v107 offset0:108 offset1:144
	ds_read2_b64 v[32:35], v8 offset0:32 offset1:59
	;; [unrolled: 1-line block ×6, first 2 shown]
	ds_read_b64 v[42:43], v107 offset:3168
	s_and_saveexec_b64 s[0:1], s[2:3]
	s_xor_b64 s[0:1], exec, s[0:1]
	s_or_saveexec_b64 s[0:1], s[0:1]
	v_mov_b32_e32 v78, v36
	v_mov_b32_e32 v79, v36
	;; [unrolled: 1-line block ×30, first 2 shown]
	v_add_u32_e32 v80, 0x360, v127
	s_xor_b64 exec, exec, s[0:1]
	s_cbranch_execz .LBB0_27
; %bb.26:
	v_add_u32_e32 v0, 0x400, v107
	ds_read_b64 v[82:83], v107 offset:3384
	ds_read2_b64 v[0:3], v0 offset0:7 offset1:151
	s_waitcnt lgkmcnt(1)
	v_mov_b32_e32 v40, v82
	s_waitcnt lgkmcnt(0)
	v_mov_b32_e32 v41, v3
	v_mov_b32_e32 v3, v83
.LBB0_27:
	s_or_b64 exec, exec, s[0:1]
	s_waitcnt lgkmcnt(6)
	v_pk_mul_f32 v[36:37], v[36:37], v[6:7]
	s_waitcnt lgkmcnt(5)
	v_pk_mul_f32 v[38:39], v[38:39], v[32:33]
	v_pk_fma_f32 v[82:83], v[78:79], v[6:7], v[36:37] op_sel:[0,0,1] op_sel_hi:[1,1,0]
	v_pk_fma_f32 v[6:7], v[78:79], v[6:7], v[36:37] op_sel:[0,0,1] op_sel_hi:[1,1,0] neg_lo:[0,0,1] neg_hi:[0,0,1]
	s_mov_b32 s0, 0x3f5db3d7
	v_mov_b32_e32 v83, v7
	v_pk_fma_f32 v[6:7], v[76:77], v[32:33], v[38:39] op_sel:[0,0,1] op_sel_hi:[1,1,0]
	v_pk_fma_f32 v[32:33], v[76:77], v[32:33], v[38:39] op_sel:[0,0,1] op_sel_hi:[1,1,0] neg_lo:[0,0,1] neg_hi:[0,0,1]
	s_waitcnt lgkmcnt(4)
	v_pk_mul_f32 v[44:45], v[44:45], v[24:25]
	v_mov_b32_e32 v7, v33
	v_pk_add_f32 v[32:33], v[28:29], v[82:83]
	v_pk_add_f32 v[36:37], v[82:83], v[6:7]
	;; [unrolled: 1-line block ×3, first 2 shown]
	v_pk_add_f32 v[6:7], v[82:83], v[6:7] neg_lo:[0,1] neg_hi:[0,1]
	v_pk_fma_f32 v[28:29], v[36:37], 0.5, v[28:29] op_sel_hi:[1,0,1] neg_lo:[1,0,0] neg_hi:[1,0,0]
	v_pk_mul_f32 v[6:7], v[6:7], s[0:1] op_sel_hi:[1,0]
	v_pk_mul_f32 v[46:47], v[46:47], v[34:35]
	v_pk_add_f32 v[36:37], v[28:29], v[6:7] op_sel:[0,1] op_sel_hi:[1,0] neg_lo:[0,1] neg_hi:[0,1]
	v_pk_add_f32 v[28:29], v[28:29], v[6:7] op_sel:[0,1] op_sel_hi:[1,0]
	v_pk_fma_f32 v[6:7], v[74:75], v[24:25], v[44:45] op_sel:[0,0,1] op_sel_hi:[1,1,0]
	v_pk_fma_f32 v[24:25], v[74:75], v[24:25], v[44:45] op_sel:[0,0,1] op_sel_hi:[1,1,0] neg_lo:[0,0,1] neg_hi:[0,0,1]
	v_pk_mul_f32 v[48:49], v[48:49], v[26:27]
	v_mov_b32_e32 v7, v25
	v_pk_fma_f32 v[24:25], v[72:73], v[34:35], v[46:47] op_sel:[0,0,1] op_sel_hi:[1,1,0]
	v_pk_fma_f32 v[34:35], v[72:73], v[34:35], v[46:47] op_sel:[0,0,1] op_sel_hi:[1,1,0] neg_lo:[0,0,1] neg_hi:[0,0,1]
	s_waitcnt lgkmcnt(2)
	v_pk_mul_f32 v[50:51], v[50:51], v[16:17]
	v_mov_b32_e32 v25, v35
	v_pk_add_f32 v[34:35], v[30:31], v[6:7]
	s_waitcnt lgkmcnt(1)
	v_pk_mul_f32 v[64:65], v[64:65], v[8:9]
	v_pk_add_f32 v[34:35], v[34:35], v[24:25]
	ds_write2_b64 v107, v[32:33], v[34:35] offset1:27
	v_pk_add_f32 v[32:33], v[6:7], v[24:25]
	v_pk_add_f32 v[6:7], v[6:7], v[24:25] neg_lo:[0,1] neg_hi:[0,1]
	v_pk_fma_f32 v[30:31], v[32:33], 0.5, v[30:31] op_sel_hi:[1,0,1] neg_lo:[1,0,0] neg_hi:[1,0,0]
	v_pk_mul_f32 v[6:7], v[6:7], s[0:1] op_sel_hi:[1,0]
	v_pk_mul_f32 v[66:67], v[66:67], v[18:19]
	v_pk_add_f32 v[24:25], v[30:31], v[6:7] op_sel:[0,1] op_sel_hi:[1,0] neg_lo:[0,1] neg_hi:[0,1]
	v_pk_add_f32 v[30:31], v[30:31], v[6:7] op_sel:[0,1] op_sel_hi:[1,0]
	v_mov_b32_e32 v6, v24
	v_mov_b32_e32 v7, v31
	;; [unrolled: 1-line block ×3, first 2 shown]
	v_pk_fma_f32 v[24:25], v[70:71], v[26:27], v[48:49] op_sel:[0,0,1] op_sel_hi:[1,1,0]
	v_pk_fma_f32 v[26:27], v[70:71], v[26:27], v[48:49] op_sel:[0,0,1] op_sel_hi:[1,1,0] neg_lo:[0,0,1] neg_hi:[0,0,1]
	v_pk_mul_f32 v[60:61], v[60:61], v[10:11]
	v_mov_b32_e32 v25, v27
	v_pk_fma_f32 v[26:27], v[68:69], v[16:17], v[50:51] op_sel:[0,0,1] op_sel_hi:[1,1,0]
	v_pk_fma_f32 v[16:17], v[68:69], v[16:17], v[50:51] op_sel:[0,0,1] op_sel_hi:[1,1,0] neg_lo:[0,0,1] neg_hi:[0,0,1]
	s_waitcnt lgkmcnt(1)
	v_pk_mul_f32 v[62:63], v[62:63], v[42:43]
	v_mov_b32_e32 v27, v17
	v_pk_add_f32 v[16:17], v[12:13], v[24:25]
	v_pk_add_f32 v[32:33], v[24:25], v[26:27]
	v_pk_add_f32 v[24:25], v[24:25], v[26:27] neg_lo:[0,1] neg_hi:[0,1]
	v_pk_fma_f32 v[12:13], v[32:33], 0.5, v[12:13] op_sel_hi:[1,0,1] neg_lo:[1,0,0] neg_hi:[1,0,0]
	v_pk_mul_f32 v[24:25], v[24:25], s[0:1] op_sel_hi:[1,0]
	v_pk_add_f32 v[16:17], v[16:17], v[26:27]
	v_pk_add_f32 v[26:27], v[12:13], v[24:25] op_sel:[0,1] op_sel_hi:[1,0] neg_lo:[0,1] neg_hi:[0,1]
	v_pk_add_f32 v[12:13], v[12:13], v[24:25] op_sel:[0,1] op_sel_hi:[1,0]
	v_mov_b32_e32 v24, v26
	v_mov_b32_e32 v25, v13
	ds_write2_b64 v107, v[6:7], v[24:25] offset0:171 offset1:198
	v_mov_b32_e32 v13, v27
	v_add_u32_e32 v6, 0x800, v107
	ds_write2_b64 v6, v[30:31], v[12:13] offset0:59 offset1:86
	v_pk_fma_f32 v[12:13], v[58:59], v[8:9], v[64:65] op_sel:[0,0,1] op_sel_hi:[1,1,0]
	v_pk_fma_f32 v[8:9], v[58:59], v[8:9], v[64:65] op_sel:[0,0,1] op_sel_hi:[1,1,0] neg_lo:[0,0,1] neg_hi:[0,0,1]
	v_mov_b32_e32 v38, v36
	v_mov_b32_e32 v13, v9
	v_pk_fma_f32 v[8:9], v[56:57], v[18:19], v[66:67] op_sel:[0,0,1] op_sel_hi:[1,1,0]
	v_pk_fma_f32 v[18:19], v[56:57], v[18:19], v[66:67] op_sel:[0,0,1] op_sel_hi:[1,1,0] neg_lo:[0,0,1] neg_hi:[0,0,1]
	v_mov_b32_e32 v39, v29
	v_mov_b32_e32 v9, v19
	v_pk_add_f32 v[18:19], v[14:15], v[12:13]
	v_mov_b32_e32 v29, v37
	v_pk_add_f32 v[18:19], v[18:19], v[8:9]
	ds_write2_b64 v107, v[16:17], v[18:19] offset0:54 offset1:81
	v_pk_add_f32 v[16:17], v[12:13], v[8:9]
	v_pk_add_f32 v[8:9], v[12:13], v[8:9] neg_lo:[0,1] neg_hi:[0,1]
	v_pk_fma_f32 v[14:15], v[16:17], 0.5, v[14:15] op_sel_hi:[1,0,1] neg_lo:[1,0,0] neg_hi:[1,0,0]
	v_pk_mul_f32 v[8:9], v[8:9], s[0:1] op_sel_hi:[1,0]
	v_add_u32_e32 v7, 0x400, v107
	v_pk_add_f32 v[12:13], v[14:15], v[8:9] op_sel:[0,1] op_sel_hi:[1,0] neg_lo:[0,1] neg_hi:[0,1]
	v_pk_add_f32 v[8:9], v[14:15], v[8:9] op_sel:[0,1] op_sel_hi:[1,0]
	v_mov_b32_e32 v14, v12
	v_mov_b32_e32 v15, v9
	;; [unrolled: 1-line block ×3, first 2 shown]
	ds_write_b64 v107, v[8:9] offset:2952
	v_pk_fma_f32 v[8:9], v[54:55], v[10:11], v[60:61] op_sel:[0,0,1] op_sel_hi:[1,1,0]
	v_pk_fma_f32 v[10:11], v[54:55], v[10:11], v[60:61] op_sel:[0,0,1] op_sel_hi:[1,1,0] neg_lo:[0,0,1] neg_hi:[0,0,1]
	v_pk_fma_f32 v[12:13], v[52:53], v[42:43], v[62:63] op_sel:[0,0,1] op_sel_hi:[1,1,0] neg_lo:[0,0,1] neg_hi:[0,0,1]
	v_mov_b32_e32 v9, v11
	v_pk_fma_f32 v[10:11], v[52:53], v[42:43], v[62:63] op_sel:[0,0,1] op_sel_hi:[1,1,0]
	ds_write2_b64 v7, v[14:15], v[28:29] offset0:97 offset1:160
	v_mov_b32_e32 v11, v13
	v_pk_add_f32 v[12:13], v[4:5], v[8:9]
	s_nop 0
	v_pk_add_f32 v[12:13], v[12:13], v[10:11]
	ds_write2_b64 v107, v[12:13], v[38:39] offset0:108 offset1:144
	v_pk_add_f32 v[12:13], v[8:9], v[10:11]
	v_pk_add_f32 v[8:9], v[8:9], v[10:11] neg_lo:[0,1] neg_hi:[0,1]
	v_pk_fma_f32 v[4:5], v[12:13], 0.5, v[4:5] op_sel_hi:[1,0,1] neg_lo:[1,0,0] neg_hi:[1,0,0]
	v_pk_mul_f32 v[8:9], v[8:9], s[0:1] op_sel_hi:[1,0]
	s_nop 0
	v_pk_add_f32 v[10:11], v[4:5], v[8:9] op_sel:[0,1] op_sel_hi:[1,0] neg_lo:[0,1] neg_hi:[0,1]
	v_pk_add_f32 v[4:5], v[4:5], v[8:9] op_sel:[0,1] op_sel_hi:[1,0]
	v_mov_b32_e32 v8, v10
	v_mov_b32_e32 v9, v5
	;; [unrolled: 1-line block ×3, first 2 shown]
	v_add_u32_e32 v10, 0x400, v80
	ds_write2_b64 v10, v[8:9], v[4:5] offset0:16 offset1:160
	s_and_saveexec_b64 s[2:3], vcc
	s_cbranch_execz .LBB0_29
; %bb.28:
	v_pk_mul_f32 v[4:5], v[20:21], v[40:41] op_sel:[0,1]
	v_pk_mul_f32 v[8:9], v[22:23], v[2:3] op_sel:[0,1]
	v_pk_fma_f32 v[10:11], v[20:21], v[2:3], v[4:5] op_sel:[0,0,1] op_sel_hi:[1,1,0]
	v_pk_fma_f32 v[2:3], v[20:21], v[2:3], v[4:5] op_sel:[0,0,1] op_sel_hi:[1,0,0] neg_lo:[1,0,0] neg_hi:[1,0,0]
	v_pk_fma_f32 v[4:5], v[22:23], v[40:41], v[8:9] op_sel:[0,0,1] op_sel_hi:[1,0,0] neg_lo:[1,0,0] neg_hi:[1,0,0]
	v_mov_b32_e32 v11, v3
	v_pk_fma_f32 v[2:3], v[22:23], v[40:41], v[8:9] op_sel:[0,0,1] op_sel_hi:[1,1,0]
	s_nop 0
	v_mov_b32_e32 v3, v5
	v_pk_add_f32 v[4:5], v[0:1], v[10:11]
	v_pk_add_f32 v[8:9], v[10:11], v[2:3]
	;; [unrolled: 1-line block ×3, first 2 shown]
	v_pk_add_f32 v[2:3], v[10:11], v[2:3] neg_lo:[0,1] neg_hi:[0,1]
	v_pk_fma_f32 v[0:1], -0.5, v[8:9], v[0:1] op_sel_hi:[0,1,1]
	v_pk_mul_f32 v[2:3], v[2:3], s[0:1] op_sel_hi:[1,0]
	s_nop 0
	v_pk_add_f32 v[8:9], v[0:1], v[2:3] op_sel:[0,1] op_sel_hi:[1,0] neg_lo:[0,1] neg_hi:[0,1]
	v_pk_add_f32 v[0:1], v[0:1], v[2:3] op_sel:[0,1] op_sel_hi:[1,0]
	v_mov_b32_e32 v2, v8
	v_mov_b32_e32 v3, v1
	;; [unrolled: 1-line block ×3, first 2 shown]
	ds_write2_b64 v7, v[4:5], v[2:3] offset0:7 offset1:151
	ds_write_b64 v107, v[0:1] offset:3384
.LBB0_29:
	s_or_b64 exec, exec, s[2:3]
	s_waitcnt lgkmcnt(0)
	; wave barrier
	s_waitcnt lgkmcnt(0)
	ds_read2_b64 v[0:3], v107 offset1:27
	v_mad_u64_u32 v[12:13], s[0:1], s6, v134, 0
	v_mov_b32_e32 v8, v13
	v_mad_u64_u32 v[8:9], s[0:1], s7, v134, v[8:9]
	s_waitcnt lgkmcnt(0)
	v_mul_f32_e32 v7, v143, v1
	v_fmac_f32_e32 v7, v142, v0
	v_mul_f32_e32 v0, v143, v0
	s_mov_b32 s0, 0xbda12f68
	v_fma_f32 v0, v142, v1, -v0
	s_mov_b32 s1, 0x3f62f684
	v_cvt_f64_f32_e32 v[0:1], v0
	v_mov_b32_e32 v13, v8
	v_cvt_f64_f32_e32 v[8:9], v7
	v_mul_f64 v[0:1], v[0:1], s[0:1]
	v_mul_f64 v[8:9], v[8:9], s[0:1]
	v_cvt_f32_f64_e32 v15, v[0:1]
	v_mad_u64_u32 v[0:1], s[2:3], s4, v126, 0
	v_cvt_f32_f64_e32 v14, v[8:9]
	v_mov_b32_e32 v8, v1
	v_mad_u64_u32 v[16:17], s[2:3], s5, v126, v[8:9]
	ds_read2_b64 v[8:11], v107 offset0:108 offset1:144
	v_mov_b32_e32 v4, s8
	v_mov_b32_e32 v5, s9
	v_lshl_add_u64 v[4:5], v[12:13], 3, v[4:5]
	v_mov_b32_e32 v1, v16
	s_waitcnt lgkmcnt(0)
	v_mul_f32_e32 v7, v141, v11
	v_fmac_f32_e32 v7, v140, v10
	v_cvt_f64_f32_e32 v[12:13], v7
	v_mul_f32_e32 v7, v141, v10
	v_fma_f32 v7, v140, v11, -v7
	v_cvt_f64_f32_e32 v[10:11], v7
	v_lshl_add_u64 v[0:1], v[0:1], 3, v[4:5]
	v_mul_f64 v[12:13], v[12:13], s[0:1]
	v_mul_f64 v[10:11], v[10:11], s[0:1]
	global_store_dwordx2 v[0:1], v[14:15], off
	v_cvt_f32_f64_e32 v14, v[12:13]
	v_cvt_f32_f64_e32 v15, v[10:11]
	ds_read2_b64 v[10:13], v6 offset0:32 offset1:59
	s_mul_i32 s2, s5, 0x90
	s_mul_hi_u32 s3, s4, 0x90
	s_add_i32 s3, s3, s2
	s_mul_i32 s2, s4, 0x90
	s_lshl_b64 s[2:3], s[2:3], 3
	s_waitcnt lgkmcnt(0)
	v_mul_f32_e32 v7, v139, v11
	v_lshl_add_u64 v[0:1], v[0:1], 0, s[2:3]
	v_fmac_f32_e32 v7, v138, v10
	global_store_dwordx2 v[0:1], v[14:15], off
	v_cvt_f64_f32_e32 v[14:15], v7
	v_mul_f32_e32 v7, v139, v10
	v_fma_f32 v7, v138, v11, -v7
	v_cvt_f64_f32_e32 v[10:11], v7
	v_mul_f64 v[14:15], v[14:15], s[0:1]
	v_mul_f64 v[10:11], v[10:11], s[0:1]
	v_cvt_f32_f64_e32 v14, v[14:15]
	v_cvt_f32_f64_e32 v15, v[10:11]
	v_mad_u64_u32 v[10:11], s[6:7], s4, v135, 0
	v_mov_b32_e32 v16, v11
	v_mad_u64_u32 v[16:17], s[6:7], s5, v135, v[16:17]
	v_mov_b32_e32 v11, v16
	v_lshl_add_u64 v[4:5], v[10:11], 3, v[4:5]
	global_store_dwordx2 v[4:5], v[14:15], off
	v_mul_f32_e32 v4, v137, v3
	v_fmac_f32_e32 v4, v136, v2
	v_mul_f32_e32 v2, v137, v2
	v_fma_f32 v2, v136, v3, -v2
	v_cvt_f64_f32_e32 v[4:5], v4
	v_cvt_f64_f32_e32 v[2:3], v2
	v_mul_f64 v[4:5], v[4:5], s[0:1]
	v_mul_f64 v[2:3], v[2:3], s[0:1]
	v_cvt_f32_f64_e32 v4, v[4:5]
	v_cvt_f32_f64_e32 v5, v[2:3]
	v_mov_b32_e32 v2, 0xfffffc58
	v_mad_u64_u32 v[10:11], s[6:7], s4, v2, v[0:1]
	ds_read2_b64 v[0:3], v107 offset0:171 offset1:198
	s_mul_i32 s6, s5, 0xfffffc58
	s_sub_i32 s6, s6, s4
	v_add_u32_e32 v11, s6, v11
	global_store_dwordx2 v[10:11], v[4:5], off
	s_waitcnt lgkmcnt(0)
	v_mul_f32_e32 v4, v133, v1
	v_fmac_f32_e32 v4, v132, v0
	v_mul_f32_e32 v0, v133, v0
	v_fma_f32 v0, v132, v1, -v0
	v_cvt_f64_f32_e32 v[4:5], v4
	v_cvt_f64_f32_e32 v[0:1], v0
	v_mul_f64 v[4:5], v[4:5], s[0:1]
	v_mul_f64 v[0:1], v[0:1], s[0:1]
	v_cvt_f32_f64_e32 v4, v[4:5]
	v_cvt_f32_f64_e32 v5, v[0:1]
	v_lshl_add_u64 v[0:1], v[10:11], 0, s[2:3]
	global_store_dwordx2 v[0:1], v[4:5], off
	v_mul_f32_e32 v4, v131, v13
	v_fmac_f32_e32 v4, v130, v12
	v_cvt_f64_f32_e32 v[4:5], v4
	v_mul_f64 v[4:5], v[4:5], s[0:1]
	v_cvt_f32_f64_e32 v4, v[4:5]
	v_mul_f32_e32 v5, v131, v12
	v_fma_f32 v5, v130, v13, -v5
	ds_read2_b64 v[10:13], v107 offset0:54 offset1:81
	v_cvt_f64_f32_e32 v[14:15], v5
	v_mul_f64 v[14:15], v[14:15], s[0:1]
	v_cvt_f32_f64_e32 v5, v[14:15]
	v_lshl_add_u64 v[0:1], v[0:1], 0, s[2:3]
	global_store_dwordx2 v[0:1], v[4:5], off
	s_waitcnt lgkmcnt(0)
	v_mul_f32_e32 v4, v129, v11
	v_fmac_f32_e32 v4, v128, v10
	v_cvt_f64_f32_e32 v[4:5], v4
	v_mul_f64 v[4:5], v[4:5], s[0:1]
	v_cvt_f32_f64_e32 v4, v[4:5]
	v_mul_f32_e32 v5, v129, v10
	s_mul_hi_u32 s6, s4, 0xfffffefb
	v_fma_f32 v5, v128, v11, -v5
	s_mulk_i32 s5, 0xfefb
	s_sub_i32 s6, s6, s4
	v_cvt_f64_f32_e32 v[10:11], v5
	s_add_i32 s5, s6, s5
	s_mulk_i32 s4, 0xfefb
	v_mul_f64 v[10:11], v[10:11], s[0:1]
	s_lshl_b64 s[6:7], s[4:5], 3
	v_cvt_f32_f64_e32 v5, v[10:11]
	v_lshl_add_u64 v[10:11], v[0:1], 0, s[6:7]
	v_mul_f32_e32 v0, v125, v3
	v_fmac_f32_e32 v0, v124, v2
	v_cvt_f64_f32_e32 v[0:1], v0
	v_mul_f64 v[0:1], v[0:1], s[0:1]
	global_store_dwordx2 v[10:11], v[4:5], off
	v_cvt_f32_f64_e32 v4, v[0:1]
	v_mul_f32_e32 v0, v125, v2
	v_fma_f32 v0, v124, v3, -v0
	v_cvt_f64_f32_e32 v[14:15], v0
	ds_read2_b64 v[0:3], v6 offset0:86 offset1:113
	v_mul_f64 v[6:7], v[14:15], s[0:1]
	v_cvt_f32_f64_e32 v5, v[6:7]
	v_lshl_add_u64 v[6:7], v[10:11], 0, s[2:3]
	global_store_dwordx2 v[6:7], v[4:5], off
	s_waitcnt lgkmcnt(0)
	v_mul_f32_e32 v4, v123, v1
	v_fmac_f32_e32 v4, v122, v0
	v_mul_f32_e32 v0, v123, v0
	v_fma_f32 v0, v122, v1, -v0
	v_cvt_f64_f32_e32 v[4:5], v4
	v_cvt_f64_f32_e32 v[0:1], v0
	v_mul_f64 v[4:5], v[4:5], s[0:1]
	v_mul_f64 v[0:1], v[0:1], s[0:1]
	v_cvt_f32_f64_e32 v4, v[4:5]
	v_cvt_f32_f64_e32 v5, v[0:1]
	v_lshl_add_u64 v[0:1], v[6:7], 0, s[2:3]
	global_store_dwordx2 v[0:1], v[4:5], off
	v_mul_f32_e32 v4, v121, v13
	v_fmac_f32_e32 v4, v120, v12
	v_cvt_f64_f32_e32 v[4:5], v4
	v_mul_f64 v[4:5], v[4:5], s[0:1]
	v_cvt_f32_f64_e32 v10, v[4:5]
	v_mul_f32_e32 v4, v121, v12
	v_fma_f32 v4, v120, v13, -v4
	v_cvt_f64_f32_e32 v[12:13], v4
	ds_read2_b64 v[4:7], v107 offset0:225 offset1:252
	v_mul_f64 v[12:13], v[12:13], s[0:1]
	v_cvt_f32_f64_e32 v11, v[12:13]
	v_lshl_add_u64 v[0:1], v[0:1], 0, s[6:7]
	global_store_dwordx2 v[0:1], v[10:11], off
	s_waitcnt lgkmcnt(0)
	v_mul_f32_e32 v10, v119, v5
	v_fmac_f32_e32 v10, v118, v4
	v_mul_f32_e32 v4, v119, v4
	v_fma_f32 v4, v118, v5, -v4
	v_cvt_f64_f32_e32 v[10:11], v10
	v_cvt_f64_f32_e32 v[4:5], v4
	v_mul_f64 v[10:11], v[10:11], s[0:1]
	v_mul_f64 v[4:5], v[4:5], s[0:1]
	v_cvt_f32_f64_e32 v10, v[10:11]
	v_cvt_f32_f64_e32 v11, v[4:5]
	v_mul_f32_e32 v4, v117, v3
	v_fmac_f32_e32 v4, v116, v2
	v_mul_f32_e32 v2, v117, v2
	v_fma_f32 v2, v116, v3, -v2
	v_cvt_f64_f32_e32 v[4:5], v4
	v_cvt_f64_f32_e32 v[2:3], v2
	v_mul_f64 v[4:5], v[4:5], s[0:1]
	v_mul_f64 v[2:3], v[2:3], s[0:1]
	v_cvt_f32_f64_e32 v4, v[4:5]
	v_cvt_f32_f64_e32 v5, v[2:3]
	v_mul_f32_e32 v2, v115, v9
	v_fmac_f32_e32 v2, v114, v8
	v_cvt_f64_f32_e32 v[2:3], v2
	v_mul_f64 v[2:3], v[2:3], s[0:1]
	v_lshl_add_u64 v[0:1], v[0:1], 0, s[2:3]
	v_cvt_f32_f64_e32 v2, v[2:3]
	v_mul_f32_e32 v3, v115, v8
	global_store_dwordx2 v[0:1], v[10:11], off
	v_lshl_add_u64 v[0:1], v[0:1], 0, s[2:3]
	v_fma_f32 v3, v114, v9, -v3
	global_store_dwordx2 v[0:1], v[4:5], off
	v_cvt_f64_f32_e32 v[4:5], v3
	v_mul_f64 v[4:5], v[4:5], s[0:1]
	v_cvt_f32_f64_e32 v3, v[4:5]
	v_lshl_add_u64 v[0:1], v[0:1], 0, s[6:7]
	global_store_dwordx2 v[0:1], v[2:3], off
	v_mul_f32_e32 v2, v113, v7
	v_fmac_f32_e32 v2, v112, v6
	v_cvt_f64_f32_e32 v[2:3], v2
	v_mul_f64 v[2:3], v[2:3], s[0:1]
	v_cvt_f32_f64_e32 v2, v[2:3]
	v_mul_f32_e32 v3, v113, v6
	v_fma_f32 v3, v112, v7, -v3
	ds_read_b64 v[6:7], v107 offset:3168
	v_cvt_f64_f32_e32 v[4:5], v3
	v_mul_f64 v[4:5], v[4:5], s[0:1]
	v_cvt_f32_f64_e32 v3, v[4:5]
	v_lshl_add_u64 v[0:1], v[0:1], 0, s[2:3]
	global_store_dwordx2 v[0:1], v[2:3], off
	s_waitcnt lgkmcnt(0)
	v_mul_f32_e32 v2, v111, v7
	v_fmac_f32_e32 v2, v110, v6
	v_cvt_f64_f32_e32 v[2:3], v2
	v_mul_f64 v[2:3], v[2:3], s[0:1]
	v_cvt_f32_f64_e32 v2, v[2:3]
	v_mul_f32_e32 v3, v111, v6
	v_fma_f32 v3, v110, v7, -v3
	v_cvt_f64_f32_e32 v[4:5], v3
	v_mul_f64 v[4:5], v[4:5], s[0:1]
	v_cvt_f32_f64_e32 v3, v[4:5]
	v_lshl_add_u64 v[0:1], v[0:1], 0, s[2:3]
	global_store_dwordx2 v[0:1], v[2:3], off
	s_and_b64 exec, exec, vcc
	s_cbranch_execz .LBB0_31
; %bb.30:
	global_load_dwordx2 v[6:7], v[108:109], off offset:1080
	v_add_u32_e32 v2, 0x400, v107
	ds_read2_b64 v[2:5], v2 offset0:7 offset1:151
	v_lshl_add_u64 v[0:1], s[4:5], 3, v[0:1]
	s_waitcnt vmcnt(0) lgkmcnt(0)
	v_mul_f32_e32 v8, v3, v7
	v_mul_f32_e32 v7, v2, v7
	v_fmac_f32_e32 v8, v2, v6
	v_fma_f32 v6, v6, v3, -v7
	v_cvt_f64_f32_e32 v[2:3], v8
	v_cvt_f64_f32_e32 v[6:7], v6
	v_mul_f64 v[2:3], v[2:3], s[0:1]
	v_mul_f64 v[6:7], v[6:7], s[0:1]
	v_cvt_f32_f64_e32 v2, v[2:3]
	v_cvt_f32_f64_e32 v3, v[6:7]
	global_store_dwordx2 v[0:1], v[2:3], off
	global_load_dwordx2 v[2:3], v[108:109], off offset:2232
	v_lshl_add_u64 v[0:1], v[0:1], 0, s[2:3]
	s_waitcnt vmcnt(0)
	v_mul_f32_e32 v6, v5, v3
	v_mul_f32_e32 v3, v4, v3
	v_fmac_f32_e32 v6, v4, v2
	v_fma_f32 v4, v2, v5, -v3
	v_cvt_f64_f32_e32 v[2:3], v6
	v_cvt_f64_f32_e32 v[4:5], v4
	v_mul_f64 v[2:3], v[2:3], s[0:1]
	v_mul_f64 v[4:5], v[4:5], s[0:1]
	v_cvt_f32_f64_e32 v2, v[2:3]
	v_cvt_f32_f64_e32 v3, v[4:5]
	global_store_dwordx2 v[0:1], v[2:3], off
	global_load_dwordx2 v[2:3], v[108:109], off offset:3384
	ds_read_b64 v[4:5], v107 offset:3384
	v_lshl_add_u64 v[0:1], v[0:1], 0, s[2:3]
	s_waitcnt vmcnt(0) lgkmcnt(0)
	v_mul_f32_e32 v6, v5, v3
	v_mul_f32_e32 v3, v4, v3
	v_fmac_f32_e32 v6, v4, v2
	v_fma_f32 v4, v2, v5, -v3
	v_cvt_f64_f32_e32 v[2:3], v6
	v_cvt_f64_f32_e32 v[4:5], v4
	v_mul_f64 v[2:3], v[2:3], s[0:1]
	v_mul_f64 v[4:5], v[4:5], s[0:1]
	v_cvt_f32_f64_e32 v2, v[2:3]
	v_cvt_f32_f64_e32 v3, v[4:5]
	global_store_dwordx2 v[0:1], v[2:3], off
.LBB0_31:
	s_endpgm
	.section	.rodata,"a",@progbits
	.p2align	6, 0x0
	.amdhsa_kernel bluestein_single_fwd_len432_dim1_sp_op_CI_CI
		.amdhsa_group_segment_fixed_size 6912
		.amdhsa_private_segment_fixed_size 0
		.amdhsa_kernarg_size 104
		.amdhsa_user_sgpr_count 2
		.amdhsa_user_sgpr_dispatch_ptr 0
		.amdhsa_user_sgpr_queue_ptr 0
		.amdhsa_user_sgpr_kernarg_segment_ptr 1
		.amdhsa_user_sgpr_dispatch_id 0
		.amdhsa_user_sgpr_kernarg_preload_length 0
		.amdhsa_user_sgpr_kernarg_preload_offset 0
		.amdhsa_user_sgpr_private_segment_size 0
		.amdhsa_uses_dynamic_stack 0
		.amdhsa_enable_private_segment 0
		.amdhsa_system_sgpr_workgroup_id_x 1
		.amdhsa_system_sgpr_workgroup_id_y 0
		.amdhsa_system_sgpr_workgroup_id_z 0
		.amdhsa_system_sgpr_workgroup_info 0
		.amdhsa_system_vgpr_workitem_id 0
		.amdhsa_next_free_vgpr 211
		.amdhsa_next_free_sgpr 18
		.amdhsa_accum_offset 212
		.amdhsa_reserve_vcc 1
		.amdhsa_float_round_mode_32 0
		.amdhsa_float_round_mode_16_64 0
		.amdhsa_float_denorm_mode_32 3
		.amdhsa_float_denorm_mode_16_64 3
		.amdhsa_dx10_clamp 1
		.amdhsa_ieee_mode 1
		.amdhsa_fp16_overflow 0
		.amdhsa_tg_split 0
		.amdhsa_exception_fp_ieee_invalid_op 0
		.amdhsa_exception_fp_denorm_src 0
		.amdhsa_exception_fp_ieee_div_zero 0
		.amdhsa_exception_fp_ieee_overflow 0
		.amdhsa_exception_fp_ieee_underflow 0
		.amdhsa_exception_fp_ieee_inexact 0
		.amdhsa_exception_int_div_zero 0
	.end_amdhsa_kernel
	.text
.Lfunc_end0:
	.size	bluestein_single_fwd_len432_dim1_sp_op_CI_CI, .Lfunc_end0-bluestein_single_fwd_len432_dim1_sp_op_CI_CI
                                        ; -- End function
	.section	.AMDGPU.csdata,"",@progbits
; Kernel info:
; codeLenInByte = 13940
; NumSgprs: 24
; NumVgprs: 211
; NumAgprs: 0
; TotalNumVgprs: 211
; ScratchSize: 0
; MemoryBound: 0
; FloatMode: 240
; IeeeMode: 1
; LDSByteSize: 6912 bytes/workgroup (compile time only)
; SGPRBlocks: 2
; VGPRBlocks: 26
; NumSGPRsForWavesPerEU: 24
; NumVGPRsForWavesPerEU: 211
; AccumOffset: 212
; Occupancy: 2
; WaveLimiterHint : 1
; COMPUTE_PGM_RSRC2:SCRATCH_EN: 0
; COMPUTE_PGM_RSRC2:USER_SGPR: 2
; COMPUTE_PGM_RSRC2:TRAP_HANDLER: 0
; COMPUTE_PGM_RSRC2:TGID_X_EN: 1
; COMPUTE_PGM_RSRC2:TGID_Y_EN: 0
; COMPUTE_PGM_RSRC2:TGID_Z_EN: 0
; COMPUTE_PGM_RSRC2:TIDIG_COMP_CNT: 0
; COMPUTE_PGM_RSRC3_GFX90A:ACCUM_OFFSET: 52
; COMPUTE_PGM_RSRC3_GFX90A:TG_SPLIT: 0
	.text
	.p2alignl 6, 3212836864
	.fill 256, 4, 3212836864
	.type	__hip_cuid_37312872218b15d5,@object ; @__hip_cuid_37312872218b15d5
	.section	.bss,"aw",@nobits
	.globl	__hip_cuid_37312872218b15d5
__hip_cuid_37312872218b15d5:
	.byte	0                               ; 0x0
	.size	__hip_cuid_37312872218b15d5, 1

	.ident	"AMD clang version 19.0.0git (https://github.com/RadeonOpenCompute/llvm-project roc-6.4.0 25133 c7fe45cf4b819c5991fe208aaa96edf142730f1d)"
	.section	".note.GNU-stack","",@progbits
	.addrsig
	.addrsig_sym __hip_cuid_37312872218b15d5
	.amdgpu_metadata
---
amdhsa.kernels:
  - .agpr_count:     0
    .args:
      - .actual_access:  read_only
        .address_space:  global
        .offset:         0
        .size:           8
        .value_kind:     global_buffer
      - .actual_access:  read_only
        .address_space:  global
        .offset:         8
        .size:           8
        .value_kind:     global_buffer
      - .actual_access:  read_only
        .address_space:  global
        .offset:         16
        .size:           8
        .value_kind:     global_buffer
      - .actual_access:  read_only
        .address_space:  global
        .offset:         24
        .size:           8
        .value_kind:     global_buffer
      - .actual_access:  read_only
        .address_space:  global
        .offset:         32
        .size:           8
        .value_kind:     global_buffer
      - .offset:         40
        .size:           8
        .value_kind:     by_value
      - .address_space:  global
        .offset:         48
        .size:           8
        .value_kind:     global_buffer
      - .address_space:  global
        .offset:         56
        .size:           8
        .value_kind:     global_buffer
      - .address_space:  global
        .offset:         64
        .size:           8
        .value_kind:     global_buffer
      - .address_space:  global
        .offset:         72
        .size:           8
        .value_kind:     global_buffer
      - .offset:         80
        .size:           4
        .value_kind:     by_value
      - .address_space:  global
        .offset:         88
        .size:           8
        .value_kind:     global_buffer
      - .address_space:  global
        .offset:         96
        .size:           8
        .value_kind:     global_buffer
    .group_segment_fixed_size: 6912
    .kernarg_segment_align: 8
    .kernarg_segment_size: 104
    .language:       OpenCL C
    .language_version:
      - 2
      - 0
    .max_flat_workgroup_size: 54
    .name:           bluestein_single_fwd_len432_dim1_sp_op_CI_CI
    .private_segment_fixed_size: 0
    .sgpr_count:     24
    .sgpr_spill_count: 0
    .symbol:         bluestein_single_fwd_len432_dim1_sp_op_CI_CI.kd
    .uniform_work_group_size: 1
    .uses_dynamic_stack: false
    .vgpr_count:     211
    .vgpr_spill_count: 0
    .wavefront_size: 64
amdhsa.target:   amdgcn-amd-amdhsa--gfx950
amdhsa.version:
  - 1
  - 2
...

	.end_amdgpu_metadata
